;; amdgpu-corpus repo=ROCm/rocFFT kind=compiled arch=gfx906 opt=O3
	.text
	.amdgcn_target "amdgcn-amd-amdhsa--gfx906"
	.amdhsa_code_object_version 6
	.protected	fft_rtc_fwd_len150_factors_10_5_3_wgs_60_tpt_5_halfLds_half_op_CI_CI_unitstride_sbrr_dirReg ; -- Begin function fft_rtc_fwd_len150_factors_10_5_3_wgs_60_tpt_5_halfLds_half_op_CI_CI_unitstride_sbrr_dirReg
	.globl	fft_rtc_fwd_len150_factors_10_5_3_wgs_60_tpt_5_halfLds_half_op_CI_CI_unitstride_sbrr_dirReg
	.p2align	8
	.type	fft_rtc_fwd_len150_factors_10_5_3_wgs_60_tpt_5_halfLds_half_op_CI_CI_unitstride_sbrr_dirReg,@function
fft_rtc_fwd_len150_factors_10_5_3_wgs_60_tpt_5_halfLds_half_op_CI_CI_unitstride_sbrr_dirReg: ; @fft_rtc_fwd_len150_factors_10_5_3_wgs_60_tpt_5_halfLds_half_op_CI_CI_unitstride_sbrr_dirReg
; %bb.0:
	s_load_dwordx4 s[8:11], s[4:5], 0x58
	s_load_dwordx4 s[12:15], s[4:5], 0x0
	;; [unrolled: 1-line block ×3, first 2 shown]
	v_mul_u32_u24_e32 v1, 0x3334, v0
	v_lshrrev_b32_e32 v1, 16, v1
	v_mad_u64_u32 v[1:2], s[0:1], s6, 12, v[1:2]
	v_mov_b32_e32 v5, 0
	v_mov_b32_e32 v3, 0
	;; [unrolled: 1-line block ×3, first 2 shown]
	s_waitcnt lgkmcnt(0)
	v_cmp_lt_u64_e64 s[0:1], s[14:15], 2
	v_mov_b32_e32 v4, 0
	v_mov_b32_e32 v9, v4
	;; [unrolled: 1-line block ×3, first 2 shown]
	s_and_b64 vcc, exec, s[0:1]
	v_mov_b32_e32 v8, v3
	v_mov_b32_e32 v10, v1
	s_cbranch_vccnz .LBB0_8
; %bb.1:
	s_load_dwordx2 s[0:1], s[4:5], 0x10
	s_add_u32 s2, s18, 8
	s_addc_u32 s3, s19, 0
	s_add_u32 s6, s16, 8
	v_mov_b32_e32 v3, 0
	s_addc_u32 s7, s17, 0
	v_mov_b32_e32 v4, 0
	s_waitcnt lgkmcnt(0)
	s_add_u32 s20, s0, 8
	v_mov_b32_e32 v9, v4
	v_mov_b32_e32 v13, v2
	s_addc_u32 s21, s1, 0
	s_mov_b64 s[22:23], 1
	v_mov_b32_e32 v8, v3
	v_mov_b32_e32 v12, v1
.LBB0_2:                                ; =>This Inner Loop Header: Depth=1
	s_load_dwordx2 s[24:25], s[20:21], 0x0
                                        ; implicit-def: $vgpr10_vgpr11
	s_waitcnt lgkmcnt(0)
	v_or_b32_e32 v6, s25, v13
	v_cmp_ne_u64_e32 vcc, 0, v[5:6]
	s_and_saveexec_b64 s[0:1], vcc
	s_xor_b64 s[26:27], exec, s[0:1]
	s_cbranch_execz .LBB0_4
; %bb.3:                                ;   in Loop: Header=BB0_2 Depth=1
	v_cvt_f32_u32_e32 v2, s24
	v_cvt_f32_u32_e32 v6, s25
	s_sub_u32 s0, 0, s24
	s_subb_u32 s1, 0, s25
	v_mac_f32_e32 v2, 0x4f800000, v6
	v_rcp_f32_e32 v2, v2
	v_mul_f32_e32 v2, 0x5f7ffffc, v2
	v_mul_f32_e32 v6, 0x2f800000, v2
	v_trunc_f32_e32 v6, v6
	v_mac_f32_e32 v2, 0xcf800000, v6
	v_cvt_u32_f32_e32 v6, v6
	v_cvt_u32_f32_e32 v2, v2
	v_mul_lo_u32 v7, s0, v6
	v_mul_hi_u32 v10, s0, v2
	v_mul_lo_u32 v14, s1, v2
	v_mul_lo_u32 v11, s0, v2
	v_add_u32_e32 v7, v10, v7
	v_add_u32_e32 v7, v7, v14
	v_mul_hi_u32 v10, v2, v11
	v_mul_lo_u32 v14, v2, v7
	v_mul_hi_u32 v16, v2, v7
	v_mul_hi_u32 v15, v6, v11
	v_mul_lo_u32 v11, v6, v11
	v_mul_hi_u32 v17, v6, v7
	v_add_co_u32_e32 v10, vcc, v10, v14
	v_addc_co_u32_e32 v14, vcc, 0, v16, vcc
	v_mul_lo_u32 v7, v6, v7
	v_add_co_u32_e32 v10, vcc, v10, v11
	v_addc_co_u32_e32 v10, vcc, v14, v15, vcc
	v_addc_co_u32_e32 v11, vcc, 0, v17, vcc
	v_add_co_u32_e32 v7, vcc, v10, v7
	v_addc_co_u32_e32 v10, vcc, 0, v11, vcc
	v_add_co_u32_e32 v2, vcc, v2, v7
	v_addc_co_u32_e32 v6, vcc, v6, v10, vcc
	v_mul_lo_u32 v7, s0, v6
	v_mul_hi_u32 v10, s0, v2
	v_mul_lo_u32 v11, s1, v2
	v_mul_lo_u32 v14, s0, v2
	v_add_u32_e32 v7, v10, v7
	v_add_u32_e32 v7, v7, v11
	v_mul_lo_u32 v15, v2, v7
	v_mul_hi_u32 v16, v2, v14
	v_mul_hi_u32 v17, v2, v7
	;; [unrolled: 1-line block ×3, first 2 shown]
	v_mul_lo_u32 v14, v6, v14
	v_mul_hi_u32 v10, v6, v7
	v_add_co_u32_e32 v15, vcc, v16, v15
	v_addc_co_u32_e32 v16, vcc, 0, v17, vcc
	v_mul_lo_u32 v7, v6, v7
	v_add_co_u32_e32 v14, vcc, v15, v14
	v_addc_co_u32_e32 v11, vcc, v16, v11, vcc
	v_addc_co_u32_e32 v10, vcc, 0, v10, vcc
	v_add_co_u32_e32 v7, vcc, v11, v7
	v_addc_co_u32_e32 v10, vcc, 0, v10, vcc
	v_add_co_u32_e32 v2, vcc, v2, v7
	v_addc_co_u32_e32 v10, vcc, v6, v10, vcc
	v_mad_u64_u32 v[6:7], s[0:1], v12, v10, 0
	v_mul_hi_u32 v11, v12, v2
	v_add_co_u32_e32 v14, vcc, v11, v6
	v_addc_co_u32_e32 v15, vcc, 0, v7, vcc
	v_mad_u64_u32 v[6:7], s[0:1], v13, v2, 0
	v_mad_u64_u32 v[10:11], s[0:1], v13, v10, 0
	v_add_co_u32_e32 v2, vcc, v14, v6
	v_addc_co_u32_e32 v2, vcc, v15, v7, vcc
	v_addc_co_u32_e32 v6, vcc, 0, v11, vcc
	v_add_co_u32_e32 v2, vcc, v2, v10
	v_addc_co_u32_e32 v10, vcc, 0, v6, vcc
	v_mul_lo_u32 v11, s25, v2
	v_mul_lo_u32 v14, s24, v10
	v_mad_u64_u32 v[6:7], s[0:1], s24, v2, 0
	v_add3_u32 v7, v7, v14, v11
	v_sub_u32_e32 v11, v13, v7
	v_mov_b32_e32 v14, s25
	v_sub_co_u32_e32 v6, vcc, v12, v6
	v_subb_co_u32_e64 v11, s[0:1], v11, v14, vcc
	v_subrev_co_u32_e64 v14, s[0:1], s24, v6
	v_subbrev_co_u32_e64 v11, s[0:1], 0, v11, s[0:1]
	v_cmp_le_u32_e64 s[0:1], s25, v11
	v_cndmask_b32_e64 v15, 0, -1, s[0:1]
	v_cmp_le_u32_e64 s[0:1], s24, v14
	v_cndmask_b32_e64 v14, 0, -1, s[0:1]
	v_cmp_eq_u32_e64 s[0:1], s25, v11
	v_cndmask_b32_e64 v11, v15, v14, s[0:1]
	v_add_co_u32_e64 v14, s[0:1], 2, v2
	v_addc_co_u32_e64 v15, s[0:1], 0, v10, s[0:1]
	v_add_co_u32_e64 v16, s[0:1], 1, v2
	v_addc_co_u32_e64 v17, s[0:1], 0, v10, s[0:1]
	v_subb_co_u32_e32 v7, vcc, v13, v7, vcc
	v_cmp_ne_u32_e64 s[0:1], 0, v11
	v_cmp_le_u32_e32 vcc, s25, v7
	v_cndmask_b32_e64 v11, v17, v15, s[0:1]
	v_cndmask_b32_e64 v15, 0, -1, vcc
	v_cmp_le_u32_e32 vcc, s24, v6
	v_cndmask_b32_e64 v6, 0, -1, vcc
	v_cmp_eq_u32_e32 vcc, s25, v7
	v_cndmask_b32_e32 v6, v15, v6, vcc
	v_cmp_ne_u32_e32 vcc, 0, v6
	v_cndmask_b32_e64 v6, v16, v14, s[0:1]
	v_cndmask_b32_e32 v11, v10, v11, vcc
	v_cndmask_b32_e32 v10, v2, v6, vcc
.LBB0_4:                                ;   in Loop: Header=BB0_2 Depth=1
	s_andn2_saveexec_b64 s[0:1], s[26:27]
	s_cbranch_execz .LBB0_6
; %bb.5:                                ;   in Loop: Header=BB0_2 Depth=1
	v_cvt_f32_u32_e32 v2, s24
	s_sub_i32 s26, 0, s24
	v_mov_b32_e32 v11, v5
	v_rcp_iflag_f32_e32 v2, v2
	v_mul_f32_e32 v2, 0x4f7ffffe, v2
	v_cvt_u32_f32_e32 v2, v2
	v_mul_lo_u32 v6, s26, v2
	v_mul_hi_u32 v6, v2, v6
	v_add_u32_e32 v2, v2, v6
	v_mul_hi_u32 v2, v12, v2
	v_mul_lo_u32 v6, v2, s24
	v_add_u32_e32 v7, 1, v2
	v_sub_u32_e32 v6, v12, v6
	v_subrev_u32_e32 v10, s24, v6
	v_cmp_le_u32_e32 vcc, s24, v6
	v_cndmask_b32_e32 v6, v6, v10, vcc
	v_cndmask_b32_e32 v2, v2, v7, vcc
	v_add_u32_e32 v7, 1, v2
	v_cmp_le_u32_e32 vcc, s24, v6
	v_cndmask_b32_e32 v10, v2, v7, vcc
.LBB0_6:                                ;   in Loop: Header=BB0_2 Depth=1
	s_or_b64 exec, exec, s[0:1]
	v_mul_lo_u32 v2, v11, s24
	v_mul_lo_u32 v14, v10, s25
	v_mad_u64_u32 v[6:7], s[0:1], v10, s24, 0
	s_load_dwordx2 s[0:1], s[6:7], 0x0
	s_load_dwordx2 s[24:25], s[2:3], 0x0
	v_add3_u32 v2, v7, v14, v2
	v_sub_co_u32_e32 v6, vcc, v12, v6
	v_subb_co_u32_e32 v2, vcc, v13, v2, vcc
	s_waitcnt lgkmcnt(0)
	v_mul_lo_u32 v7, s0, v2
	v_mul_lo_u32 v12, s1, v6
	v_mad_u64_u32 v[3:4], s[0:1], s0, v6, v[3:4]
	s_add_u32 s22, s22, 1
	s_addc_u32 s23, s23, 0
	s_add_u32 s2, s2, 8
	v_mul_lo_u32 v2, s24, v2
	v_mul_lo_u32 v13, s25, v6
	v_mad_u64_u32 v[8:9], s[0:1], s24, v6, v[8:9]
	v_add3_u32 v4, v12, v4, v7
	s_addc_u32 s3, s3, 0
	v_mov_b32_e32 v6, s14
	s_add_u32 s6, s6, 8
	v_mov_b32_e32 v7, s15
	s_addc_u32 s7, s7, 0
	v_cmp_ge_u64_e32 vcc, s[22:23], v[6:7]
	s_add_u32 s20, s20, 8
	v_add3_u32 v9, v13, v9, v2
	s_addc_u32 s21, s21, 0
	s_cbranch_vccnz .LBB0_8
; %bb.7:                                ;   in Loop: Header=BB0_2 Depth=1
	v_mov_b32_e32 v13, v11
	v_mov_b32_e32 v12, v10
	s_branch .LBB0_2
.LBB0_8:
	s_load_dwordx2 s[0:1], s[4:5], 0x28
	s_lshl_b64 s[6:7], s[14:15], 3
	s_add_u32 s2, s18, s6
	s_addc_u32 s3, s19, s7
                                        ; implicit-def: $vgpr16
                                        ; implicit-def: $vgpr15
                                        ; implicit-def: $vgpr17
	s_waitcnt lgkmcnt(0)
	v_cmp_gt_u64_e32 vcc, s[0:1], v[10:11]
	v_cmp_le_u64_e64 s[0:1], s[0:1], v[10:11]
	s_and_saveexec_b64 s[4:5], s[0:1]
	s_xor_b64 s[0:1], exec, s[4:5]
; %bb.9:
	s_mov_b32 s4, 0x33333334
	v_mul_hi_u32 v2, v0, s4
                                        ; implicit-def: $vgpr3_vgpr4
	v_mul_u32_u24_e32 v2, 5, v2
	v_sub_u32_e32 v16, v0, v2
	v_or_b32_e32 v15, 40, v16
	v_or_b32_e32 v17, 0x50, v16
                                        ; implicit-def: $vgpr0
; %bb.10:
	s_or_saveexec_b64 s[4:5], s[0:1]
                                        ; implicit-def: $vgpr20
                                        ; implicit-def: $vgpr30
                                        ; implicit-def: $vgpr29
                                        ; implicit-def: $vgpr7
                                        ; implicit-def: $vgpr32
                                        ; implicit-def: $vgpr2
                                        ; implicit-def: $vgpr33
                                        ; implicit-def: $vgpr12
                                        ; implicit-def: $vgpr37
                                        ; implicit-def: $vgpr45
                                        ; implicit-def: $vgpr50
                                        ; implicit-def: $vgpr31
                                        ; implicit-def: $vgpr52
                                        ; implicit-def: $vgpr13
                                        ; implicit-def: $vgpr53
                                        ; implicit-def: $vgpr6
                                        ; implicit-def: $vgpr54
                                        ; implicit-def: $vgpr5
                                        ; implicit-def: $vgpr55
                                        ; implicit-def: $vgpr47
                                        ; implicit-def: $vgpr27
                                        ; implicit-def: $vgpr19
                                        ; implicit-def: $vgpr28
                                        ; implicit-def: $vgpr18
                                        ; implicit-def: $vgpr41
                                        ; implicit-def: $vgpr14
                                        ; implicit-def: $vgpr42
                                        ; implicit-def: $vgpr22
                                        ; implicit-def: $vgpr43
                                        ; implicit-def: $vgpr21
                                        ; implicit-def: $vgpr24
                                        ; implicit-def: $vgpr26
                                        ; implicit-def: $vgpr23
                                        ; implicit-def: $vgpr25
                                        ; implicit-def: $vgpr49
                                        ; implicit-def: $vgpr44
                                        ; implicit-def: $vgpr51
                                        ; implicit-def: $vgpr36
                                        ; implicit-def: $vgpr38
                                        ; implicit-def: $vgpr48
                                        ; implicit-def: $vgpr34
                                        ; implicit-def: $vgpr39
                                        ; implicit-def: $vgpr40
                                        ; implicit-def: $vgpr35
                                        ; implicit-def: $vgpr46
	s_xor_b64 exec, exec, s[4:5]
	s_cbranch_execz .LBB0_12
; %bb.11:
	s_add_u32 s0, s16, s6
	s_addc_u32 s1, s17, s7
	s_load_dwordx2 s[0:1], s[0:1], 0x0
	s_mov_b32 s6, 0x33333334
	v_mul_hi_u32 v2, v0, s6
	s_waitcnt lgkmcnt(0)
	v_mul_lo_u32 v7, s1, v10
	v_mul_lo_u32 v12, s0, v11
	v_mad_u64_u32 v[5:6], s[0:1], s0, v10, 0
	v_mul_u32_u24_e32 v2, 5, v2
	v_sub_u32_e32 v16, v0, v2
	v_add3_u32 v6, v6, v12, v7
	v_lshlrev_b64 v[5:6], 2, v[5:6]
	v_mov_b32_e32 v0, s9
	v_add_co_u32_e64 v5, s[0:1], s8, v5
	v_lshlrev_b64 v[2:3], 2, v[3:4]
	v_addc_co_u32_e64 v0, s[0:1], v0, v6, s[0:1]
	v_add_co_u32_e64 v2, s[0:1], v5, v2
	v_addc_co_u32_e64 v0, s[0:1], v0, v3, s[0:1]
	v_lshlrev_b32_e32 v3, 2, v16
	v_add_co_u32_e64 v3, s[0:1], v2, v3
	v_addc_co_u32_e64 v4, s[0:1], 0, v0, s[0:1]
	global_load_dword v21, v[3:4], off
	global_load_dword v47, v[3:4], off offset:20
	global_load_dword v5, v[3:4], off offset:140
	;; [unrolled: 1-line block ×29, first 2 shown]
	v_or_b32_e32 v17, 0x50, v16
	v_or_b32_e32 v15, 40, v16
	s_waitcnt vmcnt(29)
	v_lshrrev_b32_e32 v43, 16, v21
	s_waitcnt vmcnt(28)
	v_lshrrev_b32_e32 v55, 16, v47
	;; [unrolled: 2-line block ×15, first 2 shown]
.LBB0_12:
	s_or_b64 exec, exec, s[4:5]
	s_mov_b32 s0, 0xaaaaaaab
	v_mul_hi_u32 v0, v1, s0
	s_movk_i32 s4, 0x3b9c
	v_sub_f16_e32 v4, v41, v28
	v_sub_f16_e32 v56, v22, v14
	v_lshrrev_b32_e32 v0, 3, v0
	v_mul_lo_u32 v0, v0, 12
	v_sub_f16_e32 v57, v19, v18
	s_mov_b32 s7, 0xbb9c
	v_sub_f16_e32 v3, v42, v27
	v_sub_u32_e32 v1, v1, v0
	v_add_f16_e32 v0, v19, v22
	v_fma_f16 v0, v0, -0.5, v21
	s_movk_i32 s5, 0x38b4
	v_add_f16_e32 v56, v57, v56
	s_mov_b32 s8, 0xb8b4
	v_fma_f16 v57, v4, s7, v0
	v_sub_f16_e32 v58, v14, v22
	v_sub_f16_e32 v59, v18, v19
	v_fma_f16 v0, v4, s4, v0
	s_movk_i32 s6, 0x34f2
	v_fma_f16 v57, v3, s5, v57
	v_add_f16_e32 v58, v59, v58
	v_fma_f16 v0, v3, s8, v0
	v_pk_add_f16 v59, v25, v23 neg_lo:[0,1] neg_hi:[0,1]
	v_pk_add_f16 v60, v26, v24 neg_lo:[0,1] neg_hi:[0,1]
	v_sub_f16_sdwa v62, v25, v23 dst_sel:DWORD dst_unused:UNUSED_PAD src0_sel:WORD_1 src1_sel:WORD_1
	v_sub_f16_sdwa v63, v26, v24 dst_sel:DWORD dst_unused:UNUSED_PAD src0_sel:WORD_1 src1_sel:WORD_1
	v_fma_f16 v57, v58, s6, v57
	v_fma_f16 v0, v58, s6, v0
	v_pk_add_f16 v58, v23, v24 neg_lo:[0,1] neg_hi:[0,1]
	v_pk_add_f16 v59, v60, v59
	v_pk_add_f16 v60, v26, v25
	v_pk_add_f16 v61, v23, v25 neg_lo:[0,1] neg_hi:[0,1]
	v_add_f16_e32 v62, v63, v62
	v_pk_add_f16 v63, v24, v26 neg_lo:[0,1] neg_hi:[0,1]
	v_pk_fma_f16 v60, v60, 0.5, v49 op_sel_hi:[1,0,1] neg_lo:[1,0,0] neg_hi:[1,0,0]
	v_pk_add_f16 v61, v63, v61
	v_pk_mul_f16 v63, v58, s4 op_sel_hi:[1,0]
	v_pk_add_f16 v64, v63, v60 op_sel:[1,0] op_sel_hi:[0,1]
	v_pk_add_f16 v60, v60, v63 op_sel:[0,1] op_sel_hi:[1,0] neg_lo:[0,1] neg_hi:[0,1]
	v_pk_add_f16 v63, v25, v26 neg_lo:[0,1] neg_hi:[0,1]
	v_pk_mul_f16 v65, v63, s5 op_sel_hi:[1,0]
	v_pk_add_f16 v64, v64, v65 op_sel:[0,1] op_sel_hi:[1,0] neg_lo:[0,1] neg_hi:[0,1]
	v_pk_add_f16 v60, v65, v60 op_sel:[1,0] op_sel_hi:[0,1]
	v_pk_fma_f16 v64, v61, s6, v64 op_sel_hi:[1,0,1]
	v_pk_fma_f16 v60, v61, s6, v60 op_sel_hi:[1,0,1]
	v_mul_f16_e32 v61, 0x34f2, v60
	v_lshrrev_b32_e32 v65, 16, v64
	v_fma_f16 v61, v65, s4, v61
	v_mul_f16_e32 v65, 0x34f2, v64
	v_lshrrev_b32_e32 v66, 16, v60
	v_fma_f16 v65, v66, s4, -v65
	v_add_f16_e32 v66, v57, v61
	v_add_f16_e32 v67, v0, v65
	v_pack_b32_f16 v66, v66, v67
	v_add_f16_e32 v67, v18, v14
	v_fma_f16 v67, v67, -0.5, v21
	v_add_f16_e32 v21, v22, v21
	v_add_f16_e32 v21, v14, v21
	;; [unrolled: 1-line block ×4, first 2 shown]
	v_fma_f16 v21, v3, s4, v67
	v_fma_f16 v21, v4, s5, v21
	;; [unrolled: 1-line block ×3, first 2 shown]
	v_add_f16_e32 v21, v25, v49
	v_add_f16_e32 v21, v23, v21
	;; [unrolled: 1-line block ×5, first 2 shown]
	s_mov_b32 s0, 0xffff
	v_fma_f16 v71, v21, -0.5, v49
	v_bfi_b32 v21, s0, v59, v58
	s_mov_b32 s1, 0x38b434f2
	v_lshrrev_b32_e32 v72, 16, v63
	v_pk_mul_f16 v59, v21, s1
	v_fma_f16 v21, v72, s4, v71
	v_add_f16_sdwa v21, v59, v21 dst_sel:DWORD dst_unused:UNUSED_PAD src0_sel:WORD_1 src1_sel:DWORD
	v_add_f16_e32 v73, v59, v21
	v_lshrrev_b32_e32 v49, 16, v49
	v_add_f16_sdwa v21, v24, v23 dst_sel:DWORD dst_unused:UNUSED_PAD src0_sel:WORD_1 src1_sel:WORD_1
	v_fma_f16 v74, v21, -0.5, v49
	v_fma_f16 v21, v63, s7, v74
	v_fma_f16 v21, v58, s8, v21
	;; [unrolled: 1-line block ×4, first 2 shown]
	v_mul_f16_e32 v21, 0x3a79, v73
	v_fma_f16 v3, v4, s8, v3
	v_fma_f16 v4, v72, s7, v71
	;; [unrolled: 1-line block ×4, first 2 shown]
	v_sub_f16_sdwa v4, v4, v59 dst_sel:DWORD dst_unused:UNUSED_PAD src0_sel:DWORD src1_sel:WORD_1
	v_fma_f16 v56, v63, s4, v74
	v_add_f16_e32 v4, v59, v4
	v_fma_f16 v56, v58, s5, v56
	v_sub_f16_e32 v58, v69, v76
	v_sub_f16_e32 v57, v57, v61
	v_mul_u32_u24_e32 v1, 0x96, v1
	v_fma_f16 v72, v62, s6, v56
	v_pack_b32_f16 v57, v58, v57
	v_mul_f16_e32 v58, 0x3a79, v4
	v_add_f16_e32 v21, v70, v68
	v_add_f16_e32 v77, v69, v76
	v_lshlrev_b32_e32 v1, 1, v1
	v_fma_f16 v58, v72, s5, -v58
	v_pack_b32_f16 v77, v21, v77
	v_mul_u32_u24_e32 v78, 10, v16
	v_add_u32_e32 v21, 0, v1
	v_sub_f16_e32 v56, v68, v70
	v_add_f16_e32 v59, v3, v58
	v_lshl_add_u32 v78, v78, 1, v21
	v_pack_b32_f16 v56, v59, v56
	ds_write2_b32 v78, v56, v57 offset0:2 offset1:3
	v_sub_f16_e32 v56, v5, v6
	v_sub_f16_e32 v57, v31, v13
	v_add_f16_e32 v56, v57, v56
	v_sub_f16_e32 v57, v6, v5
	v_sub_f16_e32 v59, v13, v31
	v_add_f16_e32 v57, v59, v57
	v_add_f16_e32 v59, v31, v5
	v_fma_f16 v59, v59, -0.5, v47
	v_sub_f16_e32 v62, v53, v52
	v_sub_f16_e32 v61, v54, v50
	v_fma_f16 v63, v62, s7, v59
	v_fma_f16 v59, v62, s4, v59
	;; [unrolled: 1-line block ×4, first 2 shown]
	ds_write2_b32 v78, v77, v66 offset1:1
	v_fma_f16 v63, v57, s6, v63
	v_fma_f16 v57, v57, s6, v59
	v_pk_add_f16 v59, v38, v36 neg_lo:[0,1] neg_hi:[0,1]
	v_pk_add_f16 v66, v51, v44 neg_lo:[0,1] neg_hi:[0,1]
	v_pk_add_f16 v59, v66, v59
	v_sub_f16_sdwa v66, v38, v36 dst_sel:DWORD dst_unused:UNUSED_PAD src0_sel:WORD_1 src1_sel:WORD_1
	v_sub_f16_sdwa v67, v51, v44 dst_sel:DWORD dst_unused:UNUSED_PAD src0_sel:WORD_1 src1_sel:WORD_1
	v_add_f16_e32 v66, v67, v66
	v_pk_add_f16 v67, v36, v38 neg_lo:[0,1] neg_hi:[0,1]
	v_pk_add_f16 v68, v44, v51 neg_lo:[0,1] neg_hi:[0,1]
	v_pk_add_f16 v67, v68, v67
	v_pk_add_f16 v68, v51, v38
	v_pk_add_f16 v69, v36, v44 neg_lo:[0,1] neg_hi:[0,1]
	v_pk_fma_f16 v68, v68, 0.5, v48 op_sel_hi:[1,0,1] neg_lo:[1,0,0] neg_hi:[1,0,0]
	v_pk_mul_f16 v70, v69, s4 op_sel_hi:[1,0]
	v_pk_add_f16 v71, v70, v68 op_sel:[1,0] op_sel_hi:[0,1]
	v_pk_add_f16 v68, v68, v70 op_sel:[0,1] op_sel_hi:[1,0] neg_lo:[0,1] neg_hi:[0,1]
	v_pk_add_f16 v70, v38, v51 neg_lo:[0,1] neg_hi:[0,1]
	v_pk_mul_f16 v74, v70, s5 op_sel_hi:[1,0]
	v_pk_add_f16 v71, v71, v74 op_sel:[0,1] op_sel_hi:[1,0] neg_lo:[0,1] neg_hi:[0,1]
	v_pk_add_f16 v68, v74, v68 op_sel:[1,0] op_sel_hi:[0,1]
	v_pk_fma_f16 v74, v67, s6, v71 op_sel_hi:[1,0,1]
	v_pk_fma_f16 v76, v67, s6, v68 op_sel_hi:[1,0,1]
	v_mul_f16_e32 v67, 0x34f2, v76
	v_lshrrev_b32_e32 v68, 16, v74
	v_fma_f16 v67, v68, s4, v67
	v_mul_f16_e32 v68, 0x34f2, v74
	v_lshrrev_b32_e32 v71, 16, v76
	v_fma_f16 v68, v71, s4, -v68
	v_add_f16_e32 v71, v63, v67
	v_add_f16_e32 v77, v57, v68
	;; [unrolled: 1-line block ×3, first 2 shown]
	v_pack_b32_f16 v71, v71, v77
	v_add_f16_e32 v77, v13, v6
	v_add_f16_e32 v80, v38, v48
	v_fma_f16 v81, v81, -0.5, v48
	v_bfi_b32 v59, s0, v59, v69
	v_lshrrev_b32_e32 v82, 16, v70
	v_lshrrev_b32_e32 v84, 16, v48
	v_add_f16_sdwa v48, v44, v36 dst_sel:DWORD dst_unused:UNUSED_PAD src0_sel:WORD_1 src1_sel:WORD_1
	v_fma_f16 v77, v77, -0.5, v47
	v_pk_mul_f16 v59, v59, s1
	v_fma_f16 v83, v82, s4, v81
	v_fma_f16 v48, v48, -0.5, v84
	v_fma_f16 v79, v61, s4, v77
	v_add_f16_sdwa v83, v59, v83 dst_sel:DWORD dst_unused:UNUSED_PAD src0_sel:WORD_1 src1_sel:DWORD
	v_fma_f16 v85, v70, s7, v48
	v_fma_f16 v61, v61, s7, v77
	;; [unrolled: 1-line block ×3, first 2 shown]
	v_add_f16_e32 v83, v59, v83
	v_fma_f16 v85, v69, s8, v85
	v_fma_f16 v61, v62, s8, v61
	;; [unrolled: 1-line block ×4, first 2 shown]
	v_mul_f16_e32 v86, 0x3a79, v83
	v_fma_f16 v56, v56, s6, v61
	v_fma_f16 v61, v82, s7, v81
	;; [unrolled: 1-line block ×3, first 2 shown]
	v_add_f16_e32 v47, v5, v47
	v_fma_f16 v86, v85, s5, v86
	v_sub_f16_sdwa v61, v61, v59 dst_sel:DWORD dst_unused:UNUSED_PAD src0_sel:DWORD src1_sel:WORD_1
	v_fma_f16 v48, v69, s5, v48
	v_add_f16_e32 v47, v6, v47
	v_add_f16_e32 v80, v36, v80
	;; [unrolled: 1-line block ×3, first 2 shown]
	v_fma_f16 v81, v66, s6, v48
	v_sub_f16_e32 v48, v79, v86
	v_sub_f16_e32 v59, v63, v67
	v_add_f16_e32 v47, v13, v47
	v_add_f16_e32 v80, v44, v80
	v_pack_b32_f16 v48, v48, v59
	v_mul_f16_e32 v59, 0x3a79, v77
	v_add_f16_e32 v47, v31, v47
	v_add_f16_e32 v80, v51, v80
	v_fma_f16 v59, v81, s5, -v59
	v_add_f16_e32 v87, v80, v47
	v_sub_f16_e32 v47, v47, v80
	v_add_f16_e32 v61, v56, v59
	v_pack_b32_f16 v47, v61, v47
	v_sub_f16_e32 v3, v3, v58
	v_sub_f16_e32 v0, v0, v65
	ds_write2_b32 v78, v47, v48 offset0:27 offset1:28
	v_sub_f16_e32 v47, v56, v59
	v_pack_b32_f16 v0, v0, v3
	v_sub_f16_e32 v3, v57, v68
	v_pack_b32_f16 v3, v3, v47
	ds_write2_b32 v78, v0, v3 offset0:4 offset1:29
	v_sub_f16_e32 v0, v12, v2
	v_sub_f16_e32 v3, v30, v7
	v_add_f16_e32 v0, v3, v0
	v_sub_f16_e32 v3, v2, v12
	v_sub_f16_e32 v47, v7, v30
	v_add_f16_e32 v3, v47, v3
	v_add_f16_e32 v47, v30, v12
	v_fma_f16 v47, v47, -0.5, v45
	v_sub_f16_e32 v56, v32, v29
	v_sub_f16_e32 v48, v33, v20
	v_fma_f16 v57, v56, s7, v47
	v_fma_f16 v47, v56, s4, v47
	;; [unrolled: 1-line block ×6, first 2 shown]
	s_waitcnt vmcnt(0)
	v_pk_add_f16 v47, v35, v40 neg_lo:[0,1] neg_hi:[0,1]
	v_pk_add_f16 v58, v39, v34 neg_lo:[0,1] neg_hi:[0,1]
	v_pk_add_f16 v47, v58, v47
	v_sub_f16_sdwa v58, v35, v40 dst_sel:DWORD dst_unused:UNUSED_PAD src0_sel:WORD_1 src1_sel:WORD_1
	v_sub_f16_sdwa v59, v39, v34 dst_sel:DWORD dst_unused:UNUSED_PAD src0_sel:WORD_1 src1_sel:WORD_1
	v_add_f16_e32 v58, v59, v58
	v_pk_add_f16 v59, v40, v35 neg_lo:[0,1] neg_hi:[0,1]
	v_pk_add_f16 v61, v34, v39 neg_lo:[0,1] neg_hi:[0,1]
	v_pk_add_f16 v59, v61, v59
	v_pk_add_f16 v61, v39, v35
	v_pk_add_f16 v62, v40, v34 neg_lo:[0,1] neg_hi:[0,1]
	v_pk_fma_f16 v61, v61, 0.5, v46 op_sel_hi:[1,0,1] neg_lo:[1,0,0] neg_hi:[1,0,0]
	v_pk_mul_f16 v63, v62, s4 op_sel_hi:[1,0]
	v_pk_add_f16 v65, v63, v61 op_sel:[1,0] op_sel_hi:[0,1]
	v_pk_add_f16 v61, v61, v63 op_sel:[0,1] op_sel_hi:[1,0] neg_lo:[0,1] neg_hi:[0,1]
	v_pk_add_f16 v63, v35, v39 neg_lo:[0,1] neg_hi:[0,1]
	v_pk_mul_f16 v66, v63, s5 op_sel_hi:[1,0]
	v_pk_add_f16 v65, v65, v66 op_sel:[0,1] op_sel_hi:[1,0] neg_lo:[0,1] neg_hi:[0,1]
	v_pk_add_f16 v61, v66, v61 op_sel:[1,0] op_sel_hi:[0,1]
	v_add_f16_e32 v88, v79, v86
	v_pk_fma_f16 v79, v59, s6, v65 op_sel_hi:[1,0,1]
	v_pk_fma_f16 v80, v59, s6, v61 op_sel_hi:[1,0,1]
	v_mul_f16_e32 v59, 0x34f2, v80
	v_lshrrev_b32_e32 v61, 16, v79
	v_sub_f16_e32 v91, v14, v18
	v_sub_f16_e32 v14, v42, v41
	v_sub_f16_e32 v18, v27, v28
	v_fma_f16 v59, v61, s4, v59
	v_mul_f16_e32 v61, 0x34f2, v79
	v_lshrrev_b32_e32 v65, 16, v80
	v_add_f16_e32 v69, v34, v40
	v_add_f16_e32 v92, v18, v14
	;; [unrolled: 1-line block ×3, first 2 shown]
	v_pack_b32_f16 v87, v87, v88
	v_fma_f16 v61, v65, s4, -v61
	v_fma_f16 v69, v69, -0.5, v46
	v_bfi_b32 v47, s0, v47, v62
	v_lshrrev_b32_e32 v70, 16, v63
	v_add_f16_e32 v18, v41, v18
	ds_write2_b32 v78, v87, v71 offset0:25 offset1:26
	v_add_f16_e32 v65, v57, v59
	v_add_f16_e32 v66, v3, v61
	;; [unrolled: 1-line block ×3, first 2 shown]
	v_pk_mul_f16 v47, v47, s1
	v_fma_f16 v71, v70, s4, v69
	v_lshrrev_b32_e32 v86, 16, v46
	v_add_f16_sdwa v46, v34, v40 dst_sel:DWORD dst_unused:UNUSED_PAD src0_sel:WORD_1 src1_sel:WORD_1
	v_add_f16_e32 v18, v28, v18
	v_pack_b32_f16 v65, v65, v66
	v_add_f16_e32 v66, v7, v2
	v_add_f16_sdwa v71, v47, v71 dst_sel:DWORD dst_unused:UNUSED_PAD src0_sel:WORD_1 src1_sel:DWORD
	v_fma_f16 v46, v46, -0.5, v86
	v_sub_f16_e32 v90, v22, v19
	v_sub_f16_e32 v19, v41, v42
	v_add_f16_e32 v94, v27, v18
	v_sub_f16_e32 v18, v28, v27
	v_fma_f16 v66, v66, -0.5, v45
	v_add_f16_e32 v45, v12, v45
	v_add_f16_e32 v82, v47, v71
	v_fma_f16 v71, v63, s7, v46
	v_add_f16_e32 v18, v18, v19
	v_add_f16_sdwa v19, v25, v49 dst_sel:DWORD dst_unused:UNUSED_PAD src0_sel:WORD_1 src1_sel:DWORD
	v_add_f16_e32 v45, v2, v45
	v_fma_f16 v67, v48, s4, v66
	v_add_f16_e32 v68, v40, v68
	v_fma_f16 v71, v62, s8, v71
	v_add_f16_e32 v14, v28, v41
	v_add_f16_sdwa v19, v23, v19 dst_sel:DWORD dst_unused:UNUSED_PAD src0_sel:WORD_1 src1_sel:DWORD
	v_add_f16_e32 v45, v7, v45
	v_fma_f16 v67, v56, s5, v67
	v_add_f16_e32 v68, v34, v68
	v_fma_f16 v87, v58, s6, v71
	v_mul_f16_e32 v71, 0x3a79, v82
	v_fma_f16 v48, v48, s7, v66
	v_fma_f16 v93, v14, -0.5, v43
	v_add_f16_e32 v14, v27, v42
	v_add_f16_sdwa v19, v24, v19 dst_sel:DWORD dst_unused:UNUSED_PAD src0_sel:WORD_1 src1_sel:DWORD
	v_add_f16_e32 v45, v30, v45
	v_fma_f16 v67, v0, s6, v67
	v_add_f16_e32 v68, v39, v68
	v_fma_f16 v71, v87, s5, v71
	v_fma_f16 v48, v56, s8, v48
	v_fma_f16 v14, v14, -0.5, v43
	v_add_f16_sdwa v95, v26, v19 dst_sel:DWORD dst_unused:UNUSED_PAD src0_sel:WORD_1 src1_sel:DWORD
	s_movk_i32 s14, 0x3a79
	v_mul_f16_e32 v19, 0xb8b4, v73
	v_add_f16_e32 v88, v68, v45
	v_add_f16_e32 v89, v67, v71
	v_fma_f16 v0, v0, s6, v48
	v_fma_f16 v48, v70, s7, v69
	;; [unrolled: 1-line block ×6, first 2 shown]
	v_pack_b32_f16 v88, v88, v89
	v_sub_f16_sdwa v48, v48, v47 dst_sel:DWORD dst_unused:UNUSED_PAD src0_sel:DWORD src1_sel:WORD_1
	v_fma_f16 v46, v62, s5, v46
	v_fma_f16 v19, v90, s8, v19
	;; [unrolled: 1-line block ×3, first 2 shown]
	ds_write2_b32 v78, v88, v65 offset0:50 offset1:51
	v_add_f16_e32 v88, v47, v48
	v_fma_f16 v89, v58, s6, v46
	v_sub_f16_e32 v46, v67, v71
	v_sub_f16_e32 v47, v57, v59
	v_pack_b32_f16 v14, v14, v19
	v_mul_f16_e32 v18, 0x34f2, v18
	s_mov_b32 s9, 0x34f23b9c
	v_pack_b32_f16 v46, v46, v47
	v_mul_f16_e32 v47, 0x3a79, v88
	v_pk_add_f16 v75, v18, v14 op_sel_hi:[0,1]
	s_mov_b32 s1, 0x34f2bb9c
	v_pk_mul_f16 v14, v60, s9
	v_fma_f16 v47, v89, s5, -v47
	v_pk_fma_f16 v96, v64, s1, v14 op_sel:[0,0,1] op_sel_hi:[1,1,0] neg_lo:[0,0,1] neg_hi:[0,0,1]
	v_fma_f16 v14, v90, s7, v93
	v_add_f16_e32 v48, v0, v47
	v_sub_f16_e32 v0, v0, v47
	v_sub_f16_e32 v3, v3, v61
	v_fma_f16 v14, v91, s8, v14
	v_fma_f16 v97, v92, s6, v14
	v_pack_b32_f16 v0, v3, v0
	v_lshlrev_b32_e32 v14, 1, v16
	v_sub_f16_e32 v45, v45, v68
	v_add_f16_e32 v3, v95, v94
	ds_write_b32 v78, v0 offset:216
	v_add_f16_e32 v0, v97, v73
	v_add3_u32 v19, 0, v14, v1
	v_pk_add_f16 v1, v75, v96
	v_pack_b32_f16 v45, v48, v45
	v_pack_b32_f16 v0, v3, v0
	v_add_u32_e32 v18, v21, v14
	v_alignbit_b32 v1, v1, v1, 16
	ds_write2_b32 v78, v45, v46 offset0:52 offset1:53
	s_load_dwordx2 s[2:3], s[2:3], 0x0
	s_waitcnt lgkmcnt(0)
	; wave barrier
	s_waitcnt lgkmcnt(0)
	v_lshl_add_u32 v22, v15, 1, v21
	ds_read_u16 v28, v18
	ds_read_u16 v27, v19 offset:10
	ds_read_u16 v26, v19 offset:20
	;; [unrolled: 1-line block ×27, first 2 shown]
	ds_read_u16 v67, v22
	ds_read_u16 v42, v19 offset:290
	s_waitcnt lgkmcnt(0)
	; wave barrier
	s_waitcnt lgkmcnt(0)
	ds_write2_b32 v78, v0, v1 offset1:1
	v_fma_f16 v0, v90, s4, v93
	v_fma_f16 v0, v91, s5, v0
	v_mul_f16_e32 v1, 0x3a79, v72
	v_fma_f16 v0, v92, s6, v0
	v_fma_f16 v1, v4, s8, -v1
	v_bfi_b32 v4, s0, v97, v75
	v_bfi_b32 v72, s0, v73, v96
	v_sub_f16_e32 v3, v94, v95
	v_pk_add_f16 v4, v4, v72 neg_lo:[0,1] neg_hi:[0,1]
	v_add_f16_e32 v72, v0, v1
	v_pack_b32_f16 v3, v72, v3
	ds_write2_b32 v78, v3, v4 offset0:2 offset1:3
	v_sub_f16_e32 v0, v0, v1
	v_sub_f16_e32 v1, v5, v31
	;; [unrolled: 1-line block ×4, first 2 shown]
	v_add_f16_e32 v4, v5, v4
	v_add_f16_e32 v5, v52, v53
	v_fma_f16 v5, v5, -0.5, v55
	v_sub_f16_e32 v3, v6, v13
	v_fma_f16 v6, v1, s7, v5
	v_fma_f16 v5, v1, s4, v5
	v_add_f16_e32 v13, v54, v55
	v_fma_f16 v6, v3, s8, v6
	v_fma_f16 v5, v3, s5, v5
	v_add_f16_e32 v13, v53, v13
	;; [unrolled: 3-line block ×3, first 2 shown]
	v_add_f16_e32 v13, v52, v13
	v_fma_f16 v5, v5, -0.5, v55
	v_sub_f16_e32 v31, v53, v54
	v_add_f16_e32 v13, v50, v13
	v_sub_f16_e32 v50, v52, v50
	v_add_f16_e32 v31, v50, v31
	v_fma_f16 v50, v3, s4, v5
	v_fma_f16 v3, v3, s7, v5
	;; [unrolled: 1-line block ×4, first 2 shown]
	v_add_f16_sdwa v3, v38, v84 dst_sel:DWORD dst_unused:UNUSED_PAD src0_sel:WORD_1 src1_sel:DWORD
	v_add_f16_sdwa v3, v36, v3 dst_sel:DWORD dst_unused:UNUSED_PAD src0_sel:WORD_1 src1_sel:DWORD
	v_sub_f16_e32 v12, v12, v30
	v_sub_f16_e32 v2, v2, v7
	;; [unrolled: 1-line block ×4, first 2 shown]
	v_add_f16_sdwa v3, v44, v3 dst_sel:DWORD dst_unused:UNUSED_PAD src0_sel:WORD_1 src1_sel:DWORD
	v_mul_f16_e32 v38, 0x3a79, v81
	v_add_f16_e32 v7, v30, v7
	v_add_f16_e32 v30, v29, v32
	v_add_f16_sdwa v3, v51, v3 dst_sel:DWORD dst_unused:UNUSED_PAD src0_sel:WORD_1 src1_sel:DWORD
	v_fma_f16 v38, v77, s8, -v38
	v_fma_f16 v30, v30, -0.5, v37
	v_add_f16_e32 v44, v3, v13
	v_sub_f16_e32 v3, v13, v3
	v_add_f16_e32 v13, v4, v38
	v_sub_f16_e32 v4, v4, v38
	v_fma_f16 v38, v12, s7, v30
	v_fma_f16 v30, v12, s4, v30
	;; [unrolled: 1-line block ×6, first 2 shown]
	v_add_f16_e32 v30, v20, v33
	v_fma_f16 v30, v30, -0.5, v37
	v_add_f16_e32 v37, v33, v37
	v_add_f16_e32 v37, v32, v37
	v_sub_f16_e32 v32, v32, v33
	v_add_f16_e32 v33, v29, v37
	v_add_f16_e32 v33, v20, v33
	v_sub_f16_e32 v20, v29, v20
	v_fma_f16 v29, v2, s4, v30
	v_fma_f16 v2, v2, s7, v30
	v_pack_b32_f16 v1, v1, v5
	v_mul_f16_e32 v5, 0x34f2, v31
	v_mul_f16_e32 v36, 0xb8b4, v83
	v_fma_f16 v29, v12, s8, v29
	v_fma_f16 v2, v12, s5, v2
	v_add_f16_sdwa v12, v35, v86 dst_sel:DWORD dst_unused:UNUSED_PAD src0_sel:WORD_1 src1_sel:DWORD
	v_pk_add_f16 v1, v5, v1 op_sel_hi:[0,1]
	v_pk_mul_f16 v5, v76, s9
	v_fma_f16 v36, v85, s14, v36
	v_add_f16_sdwa v12, v40, v12 dst_sel:DWORD dst_unused:UNUSED_PAD src0_sel:WORD_1 src1_sel:DWORD
	v_pk_fma_f16 v5, v74, s1, v5 op_sel:[0,0,1] op_sel_hi:[1,1,0] neg_lo:[0,0,1] neg_hi:[0,0,1]
	v_add_f16_e32 v20, v20, v32
	v_add_f16_sdwa v12, v34, v12 dst_sel:DWORD dst_unused:UNUSED_PAD src0_sel:WORD_1 src1_sel:DWORD
	v_mul_f16_e32 v32, 0x3a79, v89
	v_add_f16_e32 v31, v6, v36
	v_bfi_b32 v6, s0, v6, v1
	v_pk_add_f16 v35, v1, v5
	v_sub_f16_e32 v1, v1, v5
	v_bfi_b32 v5, s0, v36, v5
	v_add_f16_sdwa v12, v39, v12 dst_sel:DWORD dst_unused:UNUSED_PAD src0_sel:WORD_1 src1_sel:DWORD
	v_mul_f16_e32 v30, 0xb8b4, v82
	v_fma_f16 v32, v88, s8, -v32
	v_pk_add_f16 v5, v6, v5 neg_lo:[0,1] neg_hi:[0,1]
	v_pack_b32_f16 v2, v2, v29
	v_mul_f16_e32 v6, 0x34f2, v20
	v_pk_mul_f16 v20, v80, s9
	v_fma_f16 v30, v87, s14, v30
	v_add_f16_e32 v34, v12, v33
	v_sub_f16_e32 v12, v33, v12
	v_add_f16_e32 v33, v7, v32
	v_sub_f16_e32 v7, v7, v32
	v_sub_f16_e32 v32, v75, v96
	v_pk_add_f16 v2, v6, v2 op_sel_hi:[0,1]
	v_pk_fma_f16 v20, v79, s1, v20 op_sel:[0,0,1] op_sel_hi:[1,1,0] neg_lo:[0,0,1] neg_hi:[0,0,1]
	v_add_f16_e32 v6, v38, v30
	v_pk_add_f16 v29, v2, v20
	v_pack_b32_f16 v0, v32, v0
	v_pack_b32_f16 v1, v1, v4
	ds_write2_b32 v78, v0, v1 offset0:4 offset1:29
	v_alignbit_b32 v0, v29, v29, 16
	v_pack_b32_f16 v1, v34, v6
	ds_write2_b32 v78, v1, v0 offset0:50 offset1:51
	v_bfi_b32 v0, s0, v38, v2
	v_bfi_b32 v1, s0, v30, v20
	v_sub_f16_e32 v32, v2, v20
	v_pk_add_f16 v0, v0, v1 neg_lo:[0,1] neg_hi:[0,1]
	v_pack_b32_f16 v1, v33, v12
	v_pack_b32_f16 v3, v13, v3
	ds_write2_b32 v78, v1, v0 offset0:52 offset1:53
	v_pack_b32_f16 v0, v32, v7
	v_lshlrev_b32_e32 v12, 2, v16
	v_mov_b32_e32 v13, 0
	ds_write_b32 v78, v0 offset:216
	v_lshlrev_b64 v[0:1], 2, v[12:13]
	v_mov_b32_e32 v2, s13
	v_add_co_u32_e64 v0, s[0:1], s12, v0
	v_alignbit_b32 v35, v35, v35, 16
	v_pack_b32_f16 v31, v44, v31
	v_addc_co_u32_e64 v1, s[0:1], v2, v1, s[0:1]
	ds_write2_b32 v78, v31, v35 offset0:25 offset1:26
	ds_write2_b32 v78, v3, v5 offset0:27 offset1:28
	s_waitcnt lgkmcnt(0)
	; wave barrier
	s_waitcnt lgkmcnt(0)
	global_load_dwordx4 v[4:7], v[0:1], off
	v_add_u32_e32 v20, 5, v16
	v_lshlrev_b32_e32 v12, 2, v20
	v_lshlrev_b64 v[0:1], 2, v[12:13]
	v_add_co_u32_e64 v0, s[0:1], s12, v0
	v_addc_co_u32_e64 v1, s[0:1], v2, v1, s[0:1]
	global_load_dwordx4 v[0:3], v[0:1], off
	ds_read_u16 v29, v19 offset:60
	ds_read_u16 v32, v19 offset:70
	ds_read_u16 v34, v19 offset:140
	ds_read_u16 v31, v19 offset:150
	ds_read_u16 v12, v19 offset:160
	ds_read_u16 v33, v19 offset:130
	ds_read_u16 v30, v19 offset:120
	ds_read_u16 v36, v18
	ds_read_u16 v37, v19 offset:10
	ds_read_u16 v38, v19 offset:20
	;; [unrolled: 1-line block ×5, first 2 shown]
	s_movk_i32 s0, 0xcd
	ds_read_u16 v55, v19 offset:90
	ds_read_u16 v74, v19 offset:100
	;; [unrolled: 1-line block ×3, first 2 shown]
	s_waitcnt vmcnt(1)
	v_mul_f16_sdwa v50, v70, v4 dst_sel:DWORD dst_unused:UNUSED_PAD src0_sel:DWORD src1_sel:WORD_1
	s_waitcnt lgkmcnt(14)
	v_mul_f16_sdwa v40, v29, v4 dst_sel:DWORD dst_unused:UNUSED_PAD src0_sel:DWORD src1_sel:WORD_1
	v_fma_f16 v54, v29, v4, v50
	v_add_u32_e32 v29, 20, v16
	v_mul_lo_u16_sdwa v50, v29, s0 dst_sel:DWORD dst_unused:UNUSED_PAD src0_sel:BYTE_0 src1_sel:DWORD
	v_lshrrev_b16_e32 v50, 11, v50
	v_mul_lo_u16_e32 v50, 10, v50
	v_sub_u16_e32 v50, v29, v50
	v_and_b32_e32 v76, 0xff, v50
	v_fma_f16 v40, v70, v4, -v40
	s_waitcnt lgkmcnt(9)
	v_mul_f16_sdwa v70, v30, v5 dst_sel:DWORD dst_unused:UNUSED_PAD src0_sel:DWORD src1_sel:WORD_1
	v_lshlrev_b32_e32 v50, 4, v76
	global_load_dwordx4 v[50:53], v50, s[12:13]
	v_fma_f16 v77, v71, v5, -v70
	v_mul_f16_sdwa v70, v71, v5 dst_sel:DWORD dst_unused:UNUSED_PAD src0_sel:DWORD src1_sel:WORD_1
	v_fma_f16 v78, v30, v5, v70
	v_add_u32_e32 v30, 25, v16
	v_mul_lo_u16_sdwa v70, v30, s0 dst_sel:DWORD dst_unused:UNUSED_PAD src0_sel:BYTE_0 src1_sel:DWORD
	v_lshrrev_b16_e32 v70, 11, v70
	v_mul_lo_u16_e32 v70, 10, v70
	v_sub_u16_e32 v70, v30, v70
	v_and_b32_e32 v84, 0xff, v70
	v_lshlrev_b32_e32 v70, 4, v84
	ds_read_u16 v79, v19 offset:180
	ds_read_u16 v80, v19 offset:190
	;; [unrolled: 1-line block ×5, first 2 shown]
	global_load_dwordx4 v[70:73], v70, s[12:13]
	s_waitcnt lgkmcnt(4)
	v_mul_f16_sdwa v88, v79, v6 dst_sel:DWORD dst_unused:UNUSED_PAD src0_sel:DWORD src1_sel:WORD_1
	v_fma_f16 v88, v69, v6, -v88
	v_mul_f16_sdwa v69, v69, v6 dst_sel:DWORD dst_unused:UNUSED_PAD src0_sel:DWORD src1_sel:WORD_1
	ds_read_u16 v85, v19 offset:240
	ds_read_u16 v86, v19 offset:230
	;; [unrolled: 1-line block ×3, first 2 shown]
	v_fma_f16 v69, v79, v6, v69
	ds_read_u16 v79, v22
	s_waitcnt lgkmcnt(3)
	v_mul_f16_sdwa v89, v85, v7 dst_sel:DWORD dst_unused:UNUSED_PAD src0_sel:DWORD src1_sel:WORD_1
	v_fma_f16 v89, v68, v7, -v89
	v_mul_f16_sdwa v68, v68, v7 dst_sel:DWORD dst_unused:UNUSED_PAD src0_sel:DWORD src1_sel:WORD_1
	v_fma_f16 v68, v85, v7, v68
	s_waitcnt lgkmcnt(0)
	v_mul_f16_sdwa v92, v79, v4 dst_sel:DWORD dst_unused:UNUSED_PAD src0_sel:DWORD src1_sel:WORD_1
	v_fma_f16 v92, v67, v4, -v92
	v_mul_f16_sdwa v67, v67, v4 dst_sel:DWORD dst_unused:UNUSED_PAD src0_sel:DWORD src1_sel:WORD_1
	v_fma_f16 v4, v79, v4, v67
	v_mul_f16_sdwa v67, v34, v5 dst_sel:DWORD dst_unused:UNUSED_PAD src0_sel:DWORD src1_sel:WORD_1
	v_fma_f16 v67, v66, v5, -v67
	v_mul_f16_sdwa v66, v66, v5 dst_sel:DWORD dst_unused:UNUSED_PAD src0_sel:DWORD src1_sel:WORD_1
	ds_read_u16 v85, v19 offset:270
	ds_read_u16 v90, v19 offset:280
	;; [unrolled: 1-line block ×3, first 2 shown]
	v_fma_f16 v5, v34, v5, v66
	v_mul_f16_sdwa v34, v81, v6 dst_sel:DWORD dst_unused:UNUSED_PAD src0_sel:DWORD src1_sel:WORD_1
	ds_read_u16 v66, v19 offset:260
	v_fma_f16 v34, v65, v6, -v34
	v_mul_f16_sdwa v65, v65, v6 dst_sel:DWORD dst_unused:UNUSED_PAD src0_sel:DWORD src1_sel:WORD_1
	v_fma_f16 v6, v81, v6, v65
	ds_read_u16 v65, v19 offset:250
	s_waitcnt lgkmcnt(1)
	v_mul_f16_sdwa v79, v66, v7 dst_sel:DWORD dst_unused:UNUSED_PAD src0_sel:DWORD src1_sel:WORD_1
	v_fma_f16 v79, v64, v7, -v79
	v_mul_f16_sdwa v64, v64, v7 dst_sel:DWORD dst_unused:UNUSED_PAD src0_sel:DWORD src1_sel:WORD_1
	v_fma_f16 v7, v66, v7, v64
	s_waitcnt vmcnt(2) lgkmcnt(0)
	v_mul_f16_sdwa v66, v65, v3 dst_sel:DWORD dst_unused:UNUSED_PAD src0_sel:DWORD src1_sel:WORD_1
	v_mul_f16_sdwa v64, v32, v0 dst_sel:DWORD dst_unused:UNUSED_PAD src0_sel:DWORD src1_sel:WORD_1
	v_fma_f16 v66, v60, v3, -v66
	v_mul_f16_sdwa v60, v60, v3 dst_sel:DWORD dst_unused:UNUSED_PAD src0_sel:DWORD src1_sel:WORD_1
	v_fma_f16 v64, v61, v0, -v64
	v_mul_f16_sdwa v61, v61, v0 dst_sel:DWORD dst_unused:UNUSED_PAD src0_sel:DWORD src1_sel:WORD_1
	v_fma_f16 v60, v65, v3, v60
	v_mul_f16_sdwa v65, v55, v0 dst_sel:DWORD dst_unused:UNUSED_PAD src0_sel:DWORD src1_sel:WORD_1
	v_fma_f16 v32, v32, v0, v61
	v_mul_f16_sdwa v61, v33, v1 dst_sel:DWORD dst_unused:UNUSED_PAD src0_sel:DWORD src1_sel:WORD_1
	v_fma_f16 v65, v56, v0, -v65
	v_mul_f16_sdwa v56, v56, v0 dst_sel:DWORD dst_unused:UNUSED_PAD src0_sel:DWORD src1_sel:WORD_1
	v_fma_f16 v61, v62, v1, -v61
	v_mul_f16_sdwa v62, v62, v1 dst_sel:DWORD dst_unused:UNUSED_PAD src0_sel:DWORD src1_sel:WORD_1
	v_fma_f16 v0, v55, v0, v56
	v_mul_f16_sdwa v55, v31, v1 dst_sel:DWORD dst_unused:UNUSED_PAD src0_sel:DWORD src1_sel:WORD_1
	v_mul_f16_sdwa v56, v57, v1 dst_sel:DWORD dst_unused:UNUSED_PAD src0_sel:DWORD src1_sel:WORD_1
	v_fma_f16 v33, v33, v1, v62
	v_mul_f16_sdwa v62, v80, v2 dst_sel:DWORD dst_unused:UNUSED_PAD src0_sel:DWORD src1_sel:WORD_1
	v_fma_f16 v55, v57, v1, -v55
	v_fma_f16 v1, v31, v1, v56
	v_mul_f16_sdwa v31, v82, v2 dst_sel:DWORD dst_unused:UNUSED_PAD src0_sel:DWORD src1_sel:WORD_1
	v_fma_f16 v62, v63, v2, -v62
	v_mul_f16_sdwa v63, v63, v2 dst_sel:DWORD dst_unused:UNUSED_PAD src0_sel:DWORD src1_sel:WORD_1
	v_fma_f16 v56, v58, v2, -v31
	v_mul_f16_sdwa v31, v58, v2 dst_sel:DWORD dst_unused:UNUSED_PAD src0_sel:DWORD src1_sel:WORD_1
	v_fma_f16 v63, v80, v2, v63
	v_fma_f16 v57, v82, v2, v31
	v_mul_f16_sdwa v2, v85, v3 dst_sel:DWORD dst_unused:UNUSED_PAD src0_sel:DWORD src1_sel:WORD_1
	v_fma_f16 v58, v59, v3, -v2
	v_mul_f16_sdwa v2, v59, v3 dst_sel:DWORD dst_unused:UNUSED_PAD src0_sel:DWORD src1_sel:WORD_1
	v_fma_f16 v59, v85, v3, v2
	v_sub_f16_e32 v3, v89, v88
	v_sub_f16_e32 v31, v54, v68
	s_waitcnt lgkmcnt(0)
	; wave barrier
	v_lshl_add_u32 v76, v76, 1, v21
	v_lshl_add_u32 v84, v84, 1, v21
	s_waitcnt vmcnt(1)
	v_mul_f16_sdwa v2, v74, v50 dst_sel:DWORD dst_unused:UNUSED_PAD src0_sel:DWORD src1_sel:WORD_1
	v_fma_f16 v80, v45, v50, -v2
	v_mul_f16_sdwa v2, v45, v50 dst_sel:DWORD dst_unused:UNUSED_PAD src0_sel:DWORD src1_sel:WORD_1
	v_fma_f16 v50, v74, v50, v2
	v_mul_f16_sdwa v2, v12, v51 dst_sel:DWORD dst_unused:UNUSED_PAD src0_sel:DWORD src1_sel:WORD_1
	v_fma_f16 v74, v46, v51, -v2
	v_mul_f16_sdwa v2, v46, v51 dst_sel:DWORD dst_unused:UNUSED_PAD src0_sel:DWORD src1_sel:WORD_1
	v_fma_f16 v12, v12, v51, v2
	;; [unrolled: 4-line block ×4, first 2 shown]
	s_waitcnt vmcnt(0)
	v_mul_f16_sdwa v2, v75, v70 dst_sel:DWORD dst_unused:UNUSED_PAD src0_sel:DWORD src1_sel:WORD_1
	v_fma_f16 v82, v43, v70, -v2
	v_mul_f16_sdwa v2, v43, v70 dst_sel:DWORD dst_unused:UNUSED_PAD src0_sel:DWORD src1_sel:WORD_1
	v_fma_f16 v70, v75, v70, v2
	v_mul_f16_sdwa v2, v87, v71 dst_sel:DWORD dst_unused:UNUSED_PAD src0_sel:DWORD src1_sel:WORD_1
	v_fma_f16 v75, v49, v71, -v2
	v_mul_f16_sdwa v2, v49, v71 dst_sel:DWORD dst_unused:UNUSED_PAD src0_sel:DWORD src1_sel:WORD_1
	v_fma_f16 v71, v87, v71, v2
	;; [unrolled: 4-line block ×4, first 2 shown]
	v_sub_f16_e32 v2, v40, v77
	v_add_f16_e32 v2, v2, v3
	v_add_f16_e32 v3, v77, v88
	v_fma_f16 v3, v3, -0.5, v28
	v_fma_f16 v41, v31, s4, v3
	v_sub_f16_e32 v42, v78, v69
	v_fma_f16 v3, v31, s7, v3
	v_fma_f16 v41, v42, s5, v41
	;; [unrolled: 1-line block ×5, first 2 shown]
	v_sub_f16_e32 v3, v77, v40
	v_sub_f16_e32 v43, v88, v89
	v_add_f16_e32 v3, v3, v43
	v_add_f16_e32 v43, v40, v89
	v_fma_f16 v43, v43, -0.5, v28
	v_fma_f16 v45, v42, s7, v43
	v_fma_f16 v42, v42, s4, v43
	v_fma_f16 v43, v31, s5, v45
	v_fma_f16 v31, v31, s8, v42
	v_fma_f16 v42, v3, s6, v43
	v_sub_f16_e32 v43, v54, v78
	v_sub_f16_e32 v45, v68, v69
	v_add_f16_e32 v43, v43, v45
	v_add_f16_e32 v45, v78, v69
	v_fma_f16 v3, v3, s6, v31
	v_sub_f16_e32 v31, v40, v89
	v_fma_f16 v45, v45, -0.5, v36
	v_add_f16_e32 v28, v28, v40
	v_sub_f16_e32 v40, v77, v88
	v_fma_f16 v46, v31, s7, v45
	v_fma_f16 v45, v31, s4, v45
	;; [unrolled: 1-line block ×4, first 2 shown]
	v_add_f16_e32 v28, v28, v77
	v_fma_f16 v77, v43, s6, v46
	v_fma_f16 v86, v43, s6, v45
	v_add_f16_e32 v43, v54, v68
	v_fma_f16 v43, v43, -0.5, v36
	v_add_f16_e32 v36, v36, v54
	v_add_f16_e32 v36, v36, v78
	;; [unrolled: 1-line block ×3, first 2 shown]
	v_sub_f16_e32 v45, v78, v54
	v_add_f16_e32 v54, v36, v68
	v_sub_f16_e32 v36, v69, v68
	v_add_f16_e32 v36, v45, v36
	v_fma_f16 v45, v40, s4, v43
	v_fma_f16 v40, v40, s7, v43
	;; [unrolled: 1-line block ×6, first 2 shown]
	v_sub_f16_e32 v31, v64, v61
	v_sub_f16_e32 v36, v66, v62
	v_add_f16_e32 v31, v31, v36
	v_add_f16_e32 v36, v61, v62
	v_fma_f16 v36, v36, -0.5, v27
	v_sub_f16_e32 v40, v32, v60
	v_fma_f16 v43, v40, s4, v36
	v_sub_f16_e32 v45, v33, v63
	v_fma_f16 v36, v40, s7, v36
	v_fma_f16 v43, v45, s5, v43
	;; [unrolled: 1-line block ×5, first 2 shown]
	v_sub_f16_e32 v36, v61, v64
	v_sub_f16_e32 v46, v62, v66
	v_add_f16_e32 v36, v36, v46
	v_add_f16_e32 v46, v64, v66
	v_fma_f16 v46, v46, -0.5, v27
	v_fma_f16 v47, v45, s7, v46
	v_fma_f16 v45, v45, s4, v46
	;; [unrolled: 1-line block ×3, first 2 shown]
	v_sub_f16_e32 v47, v32, v33
	v_sub_f16_e32 v48, v60, v63
	v_fma_f16 v40, v40, s8, v45
	v_add_f16_e32 v47, v47, v48
	v_add_f16_e32 v48, v33, v63
	v_fma_f16 v45, v36, s6, v46
	v_fma_f16 v36, v36, s6, v40
	v_sub_f16_e32 v40, v64, v66
	v_fma_f16 v48, v48, -0.5, v37
	v_add_f16_e32 v27, v27, v64
	v_sub_f16_e32 v46, v61, v62
	v_fma_f16 v49, v40, s7, v48
	v_fma_f16 v48, v40, s4, v48
	v_add_f16_e32 v27, v27, v61
	v_fma_f16 v49, v46, s8, v49
	v_fma_f16 v48, v46, s5, v48
	v_add_f16_e32 v27, v27, v62
	;; [unrolled: 3-line block ×3, first 2 shown]
	v_fma_f16 v47, v47, -0.5, v37
	v_add_f16_e32 v37, v37, v32
	v_add_f16_e32 v37, v37, v33
	v_sub_f16_e32 v32, v33, v32
	v_add_f16_e32 v33, v37, v63
	v_add_f16_e32 v64, v33, v60
	v_sub_f16_e32 v33, v63, v60
	v_add_f16_e32 v32, v32, v33
	v_fma_f16 v33, v46, s4, v47
	v_fma_f16 v37, v46, s7, v47
	;; [unrolled: 1-line block ×6, first 2 shown]
	v_sub_f16_e32 v32, v92, v67
	v_sub_f16_e32 v33, v79, v34
	v_add_f16_e32 v32, v32, v33
	v_add_f16_e32 v33, v67, v34
	v_fma_f16 v33, v33, -0.5, v26
	v_sub_f16_e32 v37, v4, v7
	v_fma_f16 v40, v37, s4, v33
	v_sub_f16_e32 v46, v5, v6
	v_fma_f16 v33, v37, s7, v33
	v_fma_f16 v40, v46, s5, v40
	;; [unrolled: 1-line block ×5, first 2 shown]
	v_sub_f16_e32 v33, v67, v92
	v_sub_f16_e32 v47, v34, v79
	v_add_f16_e32 v33, v33, v47
	v_add_f16_e32 v47, v92, v79
	v_fma_f16 v47, v47, -0.5, v26
	v_fma_f16 v48, v46, s7, v47
	v_fma_f16 v46, v46, s4, v47
	v_add_f16_e32 v26, v26, v92
	v_fma_f16 v47, v37, s5, v48
	v_fma_f16 v37, v37, s8, v46
	v_add_f16_e32 v26, v26, v67
	;; [unrolled: 3-line block ×3, first 2 shown]
	v_sub_f16_e32 v67, v67, v34
	v_sub_f16_e32 v34, v4, v5
	;; [unrolled: 1-line block ×3, first 2 shown]
	v_add_f16_e32 v78, v34, v37
	v_add_f16_e32 v37, v38, v4
	v_add_f16_e32 v34, v5, v6
	v_add_f16_e32 v37, v37, v5
	v_add_f16_e32 v27, v27, v66
	v_add_f16_e32 v26, v26, v79
	v_sub_f16_e32 v66, v92, v79
	v_fma_f16 v79, v34, -0.5, v38
	v_add_f16_e32 v34, v4, v7
	v_sub_f16_e32 v4, v5, v4
	v_add_f16_e32 v5, v37, v6
	v_fma_f16 v34, v34, -0.5, v38
	v_add_f16_e32 v87, v5, v7
	v_sub_f16_e32 v5, v6, v7
	v_add_f16_e32 v4, v4, v5
	v_fma_f16 v5, v67, s4, v34
	v_fma_f16 v5, v66, s8, v5
	v_add_f16_e32 v28, v28, v88
	v_fma_f16 v88, v4, s6, v5
	v_fma_f16 v5, v67, s7, v34
	;; [unrolled: 1-line block ×3, first 2 shown]
	v_add_f16_e32 v28, v28, v89
	v_fma_f16 v89, v4, s6, v5
	v_sub_f16_e32 v4, v65, v55
	v_sub_f16_e32 v5, v58, v56
	v_add_f16_e32 v4, v4, v5
	v_add_f16_e32 v5, v55, v56
	v_fma_f16 v5, v5, -0.5, v25
	v_sub_f16_e32 v6, v0, v59
	v_fma_f16 v7, v6, s4, v5
	v_sub_f16_e32 v34, v1, v57
	v_fma_f16 v5, v6, s7, v5
	v_fma_f16 v7, v34, s5, v7
	;; [unrolled: 1-line block ×5, first 2 shown]
	v_sub_f16_e32 v5, v55, v65
	v_sub_f16_e32 v37, v56, v58
	v_add_f16_e32 v5, v5, v37
	v_add_f16_e32 v37, v65, v58
	v_fma_f16 v37, v37, -0.5, v25
	v_fma_f16 v38, v34, s7, v37
	v_fma_f16 v34, v34, s4, v37
	;; [unrolled: 1-line block ×6, first 2 shown]
	v_sub_f16_e32 v6, v80, v74
	v_sub_f16_e32 v37, v81, v51
	v_add_f16_e32 v6, v6, v37
	v_add_f16_e32 v37, v74, v51
	v_fma_f16 v37, v37, -0.5, v24
	v_sub_f16_e32 v38, v50, v53
	v_fma_f16 v47, v38, s4, v37
	v_sub_f16_e32 v48, v12, v52
	v_fma_f16 v37, v38, s7, v37
	v_fma_f16 v47, v48, s5, v47
	;; [unrolled: 1-line block ×5, first 2 shown]
	v_sub_f16_e32 v37, v74, v80
	v_sub_f16_e32 v49, v51, v81
	v_add_f16_e32 v37, v37, v49
	v_add_f16_e32 v49, v80, v81
	v_fma_f16 v49, v49, -0.5, v24
	v_fma_f16 v90, v48, s7, v49
	v_fma_f16 v48, v48, s4, v49
	;; [unrolled: 1-line block ×6, first 2 shown]
	v_sub_f16_e32 v38, v82, v75
	v_sub_f16_e32 v49, v85, v83
	v_add_f16_e32 v38, v38, v49
	v_add_f16_e32 v49, v75, v83
	v_fma_f16 v49, v49, -0.5, v23
	v_sub_f16_e32 v90, v70, v73
	v_fma_f16 v91, v90, s4, v49
	v_sub_f16_e32 v92, v71, v72
	v_fma_f16 v49, v90, s7, v49
	v_fma_f16 v91, v92, s5, v91
	;; [unrolled: 1-line block ×5, first 2 shown]
	v_sub_f16_e32 v49, v75, v82
	v_sub_f16_e32 v93, v83, v85
	v_add_f16_e32 v49, v49, v93
	v_add_f16_e32 v93, v82, v85
	v_fma_f16 v93, v93, -0.5, v23
	ds_write_b16 v19, v28
	ds_write_b16 v19, v41 offset:20
	ds_write_b16 v19, v42 offset:40
	;; [unrolled: 1-line block ×12, first 2 shown]
	v_add_f16_e32 v2, v25, v65
	v_fma_f16 v94, v92, s7, v93
	v_fma_f16 v92, v92, s4, v93
	v_add_f16_e32 v2, v2, v55
	v_fma_f16 v93, v90, s5, v94
	v_fma_f16 v90, v90, s8, v92
	;; [unrolled: 3-line block ×3, first 2 shown]
	v_lshl_add_u32 v90, v17, 1, v21
	v_add_f16_e32 v2, v2, v58
	ds_write_b16 v90, v33
	ds_write_b16 v19, v32 offset:180
	ds_write_b16 v19, v2 offset:110
	;; [unrolled: 1-line block ×6, first 2 shown]
	v_add_f16_e32 v2, v24, v80
	v_add_f16_e32 v2, v2, v74
	v_add_f16_e32 v2, v2, v51
	v_add_f16_e32 v2, v2, v81
	ds_write_b16 v76, v2 offset:200
	ds_write_b16 v76, v47 offset:220
	;; [unrolled: 1-line block ×5, first 2 shown]
	v_add_f16_e32 v2, v23, v82
	v_add_f16_e32 v2, v2, v75
	v_add_f16_e32 v2, v2, v83
	v_add_f16_e32 v2, v2, v85
	ds_write_b16 v84, v2 offset:200
	ds_write_b16 v84, v91 offset:220
	;; [unrolled: 1-line block ×5, first 2 shown]
	s_waitcnt lgkmcnt(0)
	; wave barrier
	s_waitcnt lgkmcnt(0)
	ds_read_u16 v2, v18
	ds_read_u16 v3, v19 offset:10
	ds_read_u16 v6, v19 offset:20
	;; [unrolled: 1-line block ×27, first 2 shown]
	ds_read_u16 v46, v22
	ds_read_u16 v49, v19 offset:290
	s_waitcnt lgkmcnt(0)
	; wave barrier
	s_waitcnt lgkmcnt(0)
	ds_write_b16 v19, v54
	ds_write_b16 v19, v77 offset:20
	ds_write_b16 v19, v68 offset:40
	;; [unrolled: 1-line block ×10, first 2 shown]
	v_sub_f16_e32 v55, v55, v56
	v_sub_f16_e32 v56, v0, v1
	;; [unrolled: 1-line block ×3, first 2 shown]
	v_add_f16_e32 v56, v56, v60
	v_add_f16_e32 v60, v1, v57
	v_sub_f16_e32 v58, v65, v58
	v_fma_f16 v60, v60, -0.5, v44
	v_fma_f16 v61, v58, s7, v60
	v_fma_f16 v60, v58, s4, v60
	;; [unrolled: 1-line block ×6, first 2 shown]
	v_add_f16_e32 v60, v0, v59
	v_fma_f16 v60, v60, -0.5, v44
	v_add_f16_e32 v44, v44, v0
	v_add_f16_e32 v44, v44, v1
	v_sub_f16_e32 v0, v1, v0
	v_add_f16_e32 v1, v44, v57
	v_sub_f16_e32 v44, v57, v59
	v_add_f16_e32 v0, v0, v44
	v_fma_f16 v44, v55, s4, v60
	v_fma_f16 v55, v55, s7, v60
	;; [unrolled: 1-line block ×4, first 2 shown]
	v_sub_f16_e32 v57, v50, v12
	v_sub_f16_e32 v58, v53, v52
	v_add_f16_e32 v57, v57, v58
	v_add_f16_e32 v58, v12, v52
	v_fma_f16 v44, v0, s6, v44
	v_fma_f16 v0, v0, s6, v55
	v_sub_f16_e32 v55, v80, v81
	v_fma_f16 v58, v58, -0.5, v39
	v_add_f16_e32 v1, v1, v59
	v_sub_f16_e32 v51, v74, v51
	v_fma_f16 v59, v55, s7, v58
	v_fma_f16 v58, v55, s4, v58
	;; [unrolled: 1-line block ×6, first 2 shown]
	v_add_f16_e32 v58, v50, v53
	v_fma_f16 v58, v58, -0.5, v39
	v_add_f16_e32 v39, v39, v50
	v_add_f16_e32 v39, v39, v12
	v_sub_f16_e32 v12, v12, v50
	v_sub_f16_e32 v50, v52, v53
	v_add_f16_e32 v39, v39, v52
	v_add_f16_e32 v12, v12, v50
	v_fma_f16 v50, v51, s4, v58
	v_fma_f16 v51, v51, s7, v58
	v_add_f16_e32 v39, v39, v53
	v_fma_f16 v50, v55, s8, v50
	v_fma_f16 v51, v55, s5, v51
	v_sub_f16_e32 v53, v70, v71
	v_sub_f16_e32 v55, v73, v72
	v_add_f16_e32 v53, v53, v55
	v_add_f16_e32 v55, v71, v72
	v_fma_f16 v50, v12, s6, v50
	v_fma_f16 v12, v12, s6, v51
	v_sub_f16_e32 v51, v82, v85
	v_fma_f16 v55, v55, -0.5, v35
	v_fma_f16 v54, v66, s7, v79
	v_sub_f16_e32 v52, v75, v83
	v_fma_f16 v58, v51, s7, v55
	v_fma_f16 v55, v51, s4, v55
	;; [unrolled: 1-line block ×8, first 2 shown]
	v_add_f16_e32 v55, v70, v73
	ds_write_b16 v19, v54 offset:120
	ds_write_b16 v19, v88 offset:140
	ds_write_b16 v90, v89
	v_fma_f16 v54, v66, s4, v79
	v_fma_f16 v55, v55, -0.5, v35
	v_add_f16_e32 v35, v35, v70
	v_sub_f16_e32 v60, v71, v70
	v_sub_f16_e32 v62, v72, v73
	v_fma_f16 v54, v67, s5, v54
	v_add_f16_e32 v35, v35, v71
	v_add_f16_e32 v60, v60, v62
	v_fma_f16 v62, v52, s4, v55
	v_fma_f16 v52, v52, s7, v55
	;; [unrolled: 1-line block ×3, first 2 shown]
	v_add_f16_e32 v35, v35, v72
	v_fma_f16 v55, v51, s8, v62
	v_fma_f16 v51, v51, s5, v52
	s_movk_i32 s0, 0x96
	v_add_f16_e32 v35, v35, v73
	v_fma_f16 v52, v60, s6, v55
	v_fma_f16 v51, v60, s6, v51
	ds_write_b16 v19, v54 offset:180
	ds_write_b16 v19, v1 offset:110
	;; [unrolled: 1-line block ×16, first 2 shown]
	s_waitcnt lgkmcnt(0)
	; wave barrier
	s_waitcnt lgkmcnt(0)
	s_and_saveexec_b64 s[4:5], vcc
	s_cbranch_execz .LBB0_14
; %bb.13:
	v_add_u32_e32 v12, 0x5a, v14
	v_lshlrev_b64 v[0:1], 2, v[12:13]
	v_mov_b32_e32 v58, s13
	v_add_co_u32_e32 v0, vcc, s12, v0
	v_addc_co_u32_e32 v1, vcc, v58, v1, vcc
	v_lshlrev_b32_e32 v12, 1, v15
	global_load_dwordx2 v[50:51], v[0:1], off offset:160
	v_lshlrev_b64 v[0:1], 2, v[12:13]
	v_add_u32_e32 v12, 0x46, v14
	v_add_co_u32_e32 v0, vcc, s12, v0
	v_addc_co_u32_e32 v1, vcc, v58, v1, vcc
	global_load_dwordx2 v[52:53], v[0:1], off offset:160
	v_mul_lo_u32 v15, s3, v10
	v_mul_lo_u32 v35, s2, v11
	v_mad_u64_u32 v[0:1], s[2:3], s2, v10, 0
	v_lshlrev_b64 v[10:11], 2, v[12:13]
	v_add_u32_e32 v12, 60, v14
	v_add_co_u32_e32 v10, vcc, s12, v10
	v_addc_co_u32_e32 v11, vcc, v58, v11, vcc
	global_load_dwordx2 v[54:55], v[10:11], off offset:160
	v_lshlrev_b64 v[10:11], 2, v[12:13]
	ds_read_u16 v39, v19 offset:90
	v_add_co_u32_e32 v10, vcc, s12, v10
	v_addc_co_u32_e32 v11, vcc, v58, v11, vcc
	ds_read_u16 v44, v22
	ds_read_u16 v59, v19 offset:240
	ds_read_u16 v60, v19 offset:230
	;; [unrolled: 1-line block ×18, first 2 shown]
	v_add3_u32 v1, v1, v35, v15
	global_load_dwordx2 v[56:57], v[10:11], off offset:160
	s_movk_i32 s1, 0x3aee
	s_mov_b32 s2, 0xbaee
	s_mov_b32 s3, 0x51eb851f
	v_lshlrev_b64 v[0:1], 2, v[0:1]
	s_waitcnt vmcnt(3) lgkmcnt(12)
	v_mul_f16_sdwa v10, v22, v50 dst_sel:DWORD dst_unused:UNUSED_PAD src0_sel:DWORD src1_sel:WORD_1
	s_waitcnt lgkmcnt(9)
	v_mul_f16_sdwa v11, v66, v51 dst_sel:DWORD dst_unused:UNUSED_PAD src0_sel:DWORD src1_sel:WORD_1
	v_mul_f16_sdwa v12, v45, v50 dst_sel:DWORD dst_unused:UNUSED_PAD src0_sel:DWORD src1_sel:WORD_1
	;; [unrolled: 1-line block ×3, first 2 shown]
	v_fma_f16 v10, v45, v50, -v10
	v_fma_f16 v11, v49, v51, -v11
	v_fma_f16 v12, v50, v22, v12
	v_fma_f16 v15, v51, v66, v15
	s_waitcnt vmcnt(2)
	v_mul_f16_sdwa v22, v64, v52 dst_sel:DWORD dst_unused:UNUSED_PAD src0_sel:DWORD src1_sel:WORD_1
	v_mul_f16_sdwa v45, v33, v52 dst_sel:DWORD dst_unused:UNUSED_PAD src0_sel:DWORD src1_sel:WORD_1
	;; [unrolled: 1-line block ×3, first 2 shown]
	s_waitcnt lgkmcnt(8)
	v_mul_f16_sdwa v35, v67, v53 dst_sel:DWORD dst_unused:UNUSED_PAD src0_sel:DWORD src1_sel:WORD_1
	v_add_f16_e32 v51, v12, v15
	v_add_f16_e32 v66, v12, v39
	;; [unrolled: 1-line block ×3, first 2 shown]
	v_fma_f16 v77, v33, v52, -v22
	v_fma_f16 v45, v52, v64, v45
	v_fma_f16 v52, v53, v67, v49
	v_sub_f16_e32 v50, v10, v11
	v_sub_f16_e32 v12, v12, v15
	v_add_f16_e32 v10, v42, v10
	v_fma_f16 v78, v34, v53, -v35
	v_fma_f16 v22, v51, -0.5, v39
	v_add_f16_e32 v34, v15, v66
	v_fma_f16 v15, v76, -0.5, v42
	v_add_f16_e32 v39, v45, v52
	v_add_f16_e32 v35, v10, v11
	v_sub_f16_e32 v42, v77, v78
	v_fma_f16 v11, v12, s2, v15
	v_fma_f16 v33, v12, s1, v15
	v_fma_f16 v12, v39, -0.5, v44
	v_fma_f16 v39, v42, s1, v12
	v_fma_f16 v42, v42, s2, v12
	v_add_f16_e32 v12, v45, v44
	v_add_f16_e32 v44, v52, v12
	v_lshlrev_b32_e32 v12, 1, v30
	v_fma_f16 v10, v50, s1, v22
	v_fma_f16 v22, v50, s2, v22
	v_add_f16_e32 v15, v77, v78
	v_lshlrev_b64 v[49:50], 2, v[12:13]
	v_fma_f16 v12, v15, -0.5, v46
	v_sub_f16_e32 v15, v45, v52
	v_add_co_u32_e32 v49, vcc, s12, v49
	v_fma_f16 v30, v15, s2, v12
	v_fma_f16 v45, v15, s1, v12
	v_add_f16_e32 v12, v46, v77
	v_addc_co_u32_e32 v50, vcc, v58, v50, vcc
	v_add_f16_e32 v46, v12, v78
	s_waitcnt vmcnt(1)
	v_mul_f16_sdwa v12, v65, v54 dst_sel:DWORD dst_unused:UNUSED_PAD src0_sel:DWORD src1_sel:WORD_1
	global_load_dwordx2 v[49:50], v[49:50], off offset:160
	v_fma_f16 v15, v47, v54, -v12
	s_waitcnt lgkmcnt(7)
	v_mul_f16_sdwa v12, v68, v55 dst_sel:DWORD dst_unused:UNUSED_PAD src0_sel:DWORD src1_sel:WORD_1
	v_fma_f16 v64, v48, v55, -v12
	v_mul_f16_sdwa v12, v47, v54 dst_sel:DWORD dst_unused:UNUSED_PAD src0_sel:DWORD src1_sel:WORD_1
	v_fma_f16 v54, v54, v65, v12
	v_mul_f16_sdwa v12, v48, v55 dst_sel:DWORD dst_unused:UNUSED_PAD src0_sel:DWORD src1_sel:WORD_1
	v_fma_f16 v55, v55, v68, v12
	v_lshlrev_b32_e32 v12, 1, v29
	v_lshlrev_b64 v[47:48], 2, v[12:13]
	ds_read_u16 v53, v19 offset:260
	v_add_co_u32_e32 v47, vcc, s12, v47
	v_addc_co_u32_e32 v48, vcc, v58, v48, vcc
	ds_read_u16 v67, v19 offset:20
	ds_read_u16 v76, v19 offset:30
	;; [unrolled: 1-line block ×6, first 2 shown]
	global_load_dwordx2 v[51:52], v[47:48], off offset:160
	v_add_f16_e32 v12, v54, v55
	v_sub_f16_e32 v66, v15, v64
	ds_read_u16 v18, v18
	s_waitcnt lgkmcnt(1)
	v_fma_f16 v12, v12, -0.5, v80
	v_fma_f16 v29, v66, s1, v12
	v_fma_f16 v48, v66, s2, v12
	v_add_f16_e32 v12, v54, v80
	v_add_f16_e32 v65, v55, v12
	;; [unrolled: 1-line block ×3, first 2 shown]
	v_fma_f16 v12, v12, -0.5, v40
	v_sub_f16_e32 v54, v54, v55
	v_fma_f16 v47, v54, s2, v12
	v_fma_f16 v55, v54, s1, v12
	v_add_f16_e32 v12, v40, v15
	v_add_f16_e32 v64, v12, v64
	s_waitcnt vmcnt(2)
	v_mul_f16_sdwa v12, v69, v56 dst_sel:DWORD dst_unused:UNUSED_PAD src0_sel:DWORD src1_sel:WORD_1
	v_fma_f16 v15, v41, v56, -v12
	v_mul_f16_sdwa v12, v53, v57 dst_sel:DWORD dst_unused:UNUSED_PAD src0_sel:DWORD src1_sel:WORD_1
	v_fma_f16 v54, v43, v57, -v12
	v_mul_f16_sdwa v12, v41, v56 dst_sel:DWORD dst_unused:UNUSED_PAD src0_sel:DWORD src1_sel:WORD_1
	v_fma_f16 v56, v56, v69, v12
	v_mul_f16_sdwa v43, v43, v57 dst_sel:DWORD dst_unused:UNUSED_PAD src0_sel:DWORD src1_sel:WORD_1
	v_add_u32_e32 v12, 30, v14
	v_lshlrev_b64 v[40:41], 2, v[12:13]
	v_fma_f16 v12, v57, v53, v43
	v_add_f16_e32 v43, v56, v12
	v_sub_f16_e32 v68, v15, v54
	v_fma_f16 v43, v43, -0.5, v79
	v_add_f16_e32 v53, v56, v79
	ds_read_u16 v66, v19 offset:250
	v_fma_f16 v57, v68, s1, v43
	v_fma_f16 v43, v68, s2, v43
	v_add_f16_e32 v68, v12, v53
	v_add_f16_e32 v53, v15, v54
	v_fma_f16 v53, v53, -0.5, v36
	v_sub_f16_e32 v12, v56, v12
	v_fma_f16 v56, v12, s2, v53
	v_fma_f16 v69, v12, s1, v53
	v_add_f16_e32 v12, v36, v15
	v_add_f16_e32 v79, v12, v54
	v_add_u32_e32 v12, 20, v14
	v_lshlrev_b64 v[53:54], 2, v[12:13]
	v_add_co_u32_e32 v40, vcc, s12, v40
	v_addc_co_u32_e32 v41, vcc, v58, v41, vcc
	global_load_dwordx2 v[40:41], v[40:41], off offset:160
	v_add_co_u32_e32 v53, vcc, s12, v53
	v_addc_co_u32_e32 v54, vcc, v58, v54, vcc
	global_load_dwordx2 v[53:54], v[53:54], off offset:160
	ds_read_u16 v19, v19 offset:10
	s_waitcnt vmcnt(3)
	v_mul_f16_sdwa v12, v70, v49 dst_sel:DWORD dst_unused:UNUSED_PAD src0_sel:DWORD src1_sel:WORD_1
	v_mul_f16_sdwa v36, v37, v49 dst_sel:DWORD dst_unused:UNUSED_PAD src0_sel:DWORD src1_sel:WORD_1
	v_fma_f16 v15, v37, v49, -v12
	s_waitcnt lgkmcnt(1)
	v_mul_f16_sdwa v12, v66, v50 dst_sel:DWORD dst_unused:UNUSED_PAD src0_sel:DWORD src1_sel:WORD_1
	v_fma_f16 v49, v49, v70, v36
	v_mul_f16_sdwa v36, v38, v50 dst_sel:DWORD dst_unused:UNUSED_PAD src0_sel:DWORD src1_sel:WORD_1
	v_fma_f16 v80, v38, v50, -v12
	v_fma_f16 v38, v50, v66, v36
	v_add_f16_e32 v36, v49, v38
	v_sub_f16_e32 v12, v15, v80
	v_fma_f16 v36, v36, -0.5, v78
	v_fma_f16 v50, v12, s1, v36
	v_fma_f16 v66, v12, s2, v36
	v_add_f16_e32 v12, v49, v78
	v_add_f16_e32 v70, v38, v12
	;; [unrolled: 1-line block ×3, first 2 shown]
	v_lshlrev_b32_e32 v12, 1, v20
	v_lshlrev_b64 v[36:37], 2, v[12:13]
	v_fma_f16 v12, v78, -0.5, v28
	v_sub_f16_e32 v20, v49, v38
	v_fma_f16 v38, v20, s2, v12
	v_fma_f16 v20, v20, s1, v12
	v_add_f16_e32 v12, v28, v15
	s_waitcnt vmcnt(2)
	v_mul_f16_sdwa v15, v59, v52 dst_sel:DWORD dst_unused:UNUSED_PAD src0_sel:DWORD src1_sel:WORD_1
	v_add_co_u32_e32 v36, vcc, s12, v36
	v_add_f16_e32 v28, v12, v80
	v_mul_f16_sdwa v12, v71, v51 dst_sel:DWORD dst_unused:UNUSED_PAD src0_sel:DWORD src1_sel:WORD_1
	v_fma_f16 v49, v31, v52, -v15
	v_mul_f16_sdwa v15, v32, v51 dst_sel:DWORD dst_unused:UNUSED_PAD src0_sel:DWORD src1_sel:WORD_1
	v_addc_co_u32_e32 v37, vcc, v58, v37, vcc
	v_fma_f16 v12, v32, v51, -v12
	v_fma_f16 v32, v51, v71, v15
	v_mul_f16_sdwa v15, v31, v52 dst_sel:DWORD dst_unused:UNUSED_PAD src0_sel:DWORD src1_sel:WORD_1
	global_load_dwordx2 v[36:37], v[36:37], off offset:160
	v_fma_f16 v31, v52, v59, v15
	v_add_f16_e32 v15, v32, v31
	v_fma_f16 v51, v15, -0.5, v77
	v_mov_b32_e32 v15, v13
	v_lshlrev_b64 v[14:15], 2, v[14:15]
	v_sub_f16_e32 v78, v12, v49
	v_add_co_u32_e32 v14, vcc, s12, v14
	v_addc_co_u32_e32 v15, vcc, v58, v15, vcc
	global_load_dwordx2 v[14:15], v[14:15], off offset:160
	v_add_f16_e32 v59, v12, v49
	v_add_f16_e32 v12, v26, v12
	;; [unrolled: 1-line block ×3, first 2 shown]
	v_fma_f16 v59, v59, -0.5, v26
	v_add_f16_e32 v26, v12, v49
	v_add_f16_e32 v58, v31, v58
	v_sub_f16_e32 v31, v32, v31
	v_fma_f16 v32, v31, s2, v59
	v_fma_f16 v31, v31, s1, v59
	;; [unrolled: 1-line block ×4, first 2 shown]
	s_waitcnt vmcnt(3)
	v_mul_f16_sdwa v12, v72, v40 dst_sel:DWORD dst_unused:UNUSED_PAD src0_sel:DWORD src1_sel:WORD_1
	v_mul_f16_sdwa v49, v60, v41 dst_sel:DWORD dst_unused:UNUSED_PAD src0_sel:DWORD src1_sel:WORD_1
	v_fma_f16 v12, v27, v40, -v12
	v_fma_f16 v49, v25, v41, -v49
	v_mul_f16_sdwa v27, v27, v40 dst_sel:DWORD dst_unused:UNUSED_PAD src0_sel:DWORD src1_sel:WORD_1
	v_mul_f16_sdwa v25, v25, v41 dst_sel:DWORD dst_unused:UNUSED_PAD src0_sel:DWORD src1_sel:WORD_1
	v_sub_f16_e32 v59, v12, v49
	v_fma_f16 v27, v40, v72, v27
	v_fma_f16 v25, v41, v60, v25
	v_add_f16_e32 v60, v12, v49
	v_add_f16_e32 v12, v23, v12
	;; [unrolled: 1-line block ×3, first 2 shown]
	v_fma_f16 v60, v60, -0.5, v23
	v_add_f16_e32 v23, v12, v49
	s_waitcnt vmcnt(2)
	v_mul_f16_sdwa v12, v73, v53 dst_sel:DWORD dst_unused:UNUSED_PAD src0_sel:DWORD src1_sel:WORD_1
	v_mul_f16_sdwa v49, v61, v54 dst_sel:DWORD dst_unused:UNUSED_PAD src0_sel:DWORD src1_sel:WORD_1
	v_fma_f16 v40, v40, -0.5, v76
	v_fma_f16 v12, v24, v53, -v12
	v_fma_f16 v49, v7, v54, -v49
	v_mul_f16_sdwa v7, v7, v54 dst_sel:DWORD dst_unused:UNUSED_PAD src0_sel:DWORD src1_sel:WORD_1
	v_fma_f16 v41, v59, s1, v40
	v_fma_f16 v40, v59, s2, v40
	v_add_f16_e32 v59, v27, v76
	v_mul_f16_sdwa v24, v24, v53 dst_sel:DWORD dst_unused:UNUSED_PAD src0_sel:DWORD src1_sel:WORD_1
	v_fma_f16 v7, v54, v61, v7
	v_add_f16_e32 v61, v12, v49
	v_add_f16_e32 v59, v25, v59
	v_sub_f16_e32 v25, v27, v25
	v_fma_f16 v24, v53, v73, v24
	v_fma_f16 v61, v61, -0.5, v6
	v_add_f16_e32 v6, v6, v12
	v_fma_f16 v27, v25, s2, v60
	v_fma_f16 v25, v25, s1, v60
	v_sub_f16_e32 v60, v12, v49
	v_add_f16_e32 v53, v24, v7
	v_add_f16_e32 v6, v6, v49
	v_fma_f16 v53, v53, -0.5, v67
	v_fma_f16 v54, v60, s1, v53
	v_fma_f16 v53, v60, s2, v53
	v_add_f16_e32 v60, v24, v67
	v_add_f16_e32 v60, v7, v60
	v_sub_f16_e32 v7, v24, v7
	v_fma_f16 v24, v7, s2, v61
	v_fma_f16 v7, v7, s1, v61
	s_waitcnt vmcnt(1)
	v_mul_f16_sdwa v12, v74, v36 dst_sel:DWORD dst_unused:UNUSED_PAD src0_sel:DWORD src1_sel:WORD_1
	v_mul_f16_sdwa v49, v62, v37 dst_sel:DWORD dst_unused:UNUSED_PAD src0_sel:DWORD src1_sel:WORD_1
	v_fma_f16 v12, v17, v36, -v12
	v_fma_f16 v49, v21, v37, -v49
	v_mul_f16_sdwa v17, v17, v36 dst_sel:DWORD dst_unused:UNUSED_PAD src0_sel:DWORD src1_sel:WORD_1
	v_mul_f16_sdwa v21, v21, v37 dst_sel:DWORD dst_unused:UNUSED_PAD src0_sel:DWORD src1_sel:WORD_1
	v_fma_f16 v17, v36, v74, v17
	v_fma_f16 v21, v37, v62, v21
	v_add_f16_e32 v36, v17, v21
	v_sub_f16_e32 v61, v12, v49
	s_waitcnt lgkmcnt(0)
	v_fma_f16 v36, v36, -0.5, v19
	v_fma_f16 v37, v61, s1, v36
	v_fma_f16 v36, v61, s2, v36
	v_add_f16_e32 v61, v12, v49
	v_fma_f16 v61, v61, -0.5, v3
	v_add_f16_e32 v3, v3, v12
	v_add_f16_e32 v12, v3, v49
	s_waitcnt vmcnt(0)
	v_mul_f16_sdwa v3, v75, v14 dst_sel:DWORD dst_unused:UNUSED_PAD src0_sel:DWORD src1_sel:WORD_1
	v_mul_f16_sdwa v49, v63, v15 dst_sel:DWORD dst_unused:UNUSED_PAD src0_sel:DWORD src1_sel:WORD_1
	v_mul_hi_u32 v62, v16, s3
	v_fma_f16 v3, v4, v14, -v3
	v_fma_f16 v49, v5, v15, -v49
	v_mul_f16_sdwa v4, v4, v14 dst_sel:DWORD dst_unused:UNUSED_PAD src0_sel:DWORD src1_sel:WORD_1
	v_mul_f16_sdwa v5, v5, v15 dst_sel:DWORD dst_unused:UNUSED_PAD src0_sel:DWORD src1_sel:WORD_1
	v_fma_f16 v4, v14, v75, v4
	v_fma_f16 v5, v15, v63, v5
	v_add_f16_e32 v19, v17, v19
	v_sub_f16_e32 v17, v17, v21
	v_add_f16_e32 v14, v4, v5
	v_add_f16_e32 v19, v21, v19
	v_fma_f16 v21, v17, s2, v61
	v_fma_f16 v17, v17, s1, v61
	v_sub_f16_e32 v61, v3, v49
	v_fma_f16 v14, v14, -0.5, v18
	v_lshrrev_b32_e32 v62, 4, v62
	v_fma_f16 v15, v61, s1, v14
	v_fma_f16 v14, v61, s2, v14
	v_add_f16_e32 v61, v3, v49
	v_mul_lo_u32 v62, v62, 50
	v_add_f16_e32 v18, v4, v18
	v_fma_f16 v61, v61, -0.5, v2
	v_sub_f16_e32 v4, v4, v5
	v_add_f16_e32 v2, v2, v3
	v_add_f16_e32 v18, v5, v18
	v_fma_f16 v5, v4, s2, v61
	v_fma_f16 v4, v4, s1, v61
	v_add_f16_e32 v2, v2, v49
	v_mov_b32_e32 v49, s11
	v_add_co_u32_e32 v61, vcc, s10, v0
	v_addc_co_u32_e32 v49, vcc, v49, v1, vcc
	v_lshlrev_b64 v[0:1], 2, v[8:9]
	v_sub_u32_e32 v3, v16, v62
	v_add_co_u32_e32 v8, vcc, v61, v0
	v_lshlrev_b32_e32 v0, 2, v3
	v_add_u32_e32 v3, 5, v16
	v_addc_co_u32_e32 v9, vcc, v49, v1, vcc
	v_mul_hi_u32 v49, v3, s3
	v_pack_b32_f16 v2, v2, v18
	v_add_co_u32_e32 v0, vcc, v8, v0
	v_lshrrev_b32_e32 v18, 4, v49
	v_mul_lo_u32 v49, v18, 50
	v_addc_co_u32_e32 v1, vcc, 0, v9, vcc
	global_store_dword v[0:1], v2, off
	v_pack_b32_f16 v2, v4, v14
	global_store_dword v[0:1], v2, off offset:200
	v_sub_u32_e32 v2, v3, v49
	v_mad_u64_u32 v[2:3], s[4:5], v18, s0, v[2:3]
	v_pack_b32_f16 v3, v5, v15
	global_store_dword v[0:1], v3, off offset:400
	v_mov_b32_e32 v3, v13
	v_lshlrev_b64 v[0:1], 2, v[2:3]
	v_pack_b32_f16 v3, v12, v19
	v_add_co_u32_e32 v0, vcc, v8, v0
	v_addc_co_u32_e32 v1, vcc, v9, v1, vcc
	v_add_u32_e32 v12, 50, v2
	v_add_u32_e32 v4, 10, v16
	global_store_dword v[0:1], v3, off
	v_lshlrev_b64 v[0:1], 2, v[12:13]
	v_mul_hi_u32 v5, v4, s3
	v_add_co_u32_e32 v0, vcc, v8, v0
	v_addc_co_u32_e32 v1, vcc, v9, v1, vcc
	v_pack_b32_f16 v3, v17, v36
	global_store_dword v[0:1], v3, off
	v_lshrrev_b32_e32 v3, 4, v5
	v_add_u32_e32 v12, 0x64, v2
	v_mul_lo_u32 v2, v3, 50
	v_lshlrev_b64 v[0:1], 2, v[12:13]
	v_add_co_u32_e32 v0, vcc, v8, v0
	v_sub_u32_e32 v2, v4, v2
	v_mad_u64_u32 v[2:3], s[4:5], v3, s0, v[2:3]
	v_addc_co_u32_e32 v1, vcc, v9, v1, vcc
	v_pack_b32_f16 v3, v21, v37
	global_store_dword v[0:1], v3, off
	v_mov_b32_e32 v3, v13
	v_lshlrev_b64 v[0:1], 2, v[2:3]
	v_pack_b32_f16 v3, v6, v60
	v_add_co_u32_e32 v0, vcc, v8, v0
	v_addc_co_u32_e32 v1, vcc, v9, v1, vcc
	v_add_u32_e32 v12, 50, v2
	v_add_u32_e32 v4, 15, v16
	global_store_dword v[0:1], v3, off
	v_lshlrev_b64 v[0:1], 2, v[12:13]
	v_mul_hi_u32 v5, v4, s3
	v_add_co_u32_e32 v0, vcc, v8, v0
	v_addc_co_u32_e32 v1, vcc, v9, v1, vcc
	v_pack_b32_f16 v3, v7, v53
	global_store_dword v[0:1], v3, off
	v_lshrrev_b32_e32 v3, 4, v5
	v_add_u32_e32 v12, 0x64, v2
	v_mul_lo_u32 v2, v3, 50
	v_lshlrev_b64 v[0:1], 2, v[12:13]
	v_add_co_u32_e32 v0, vcc, v8, v0
	v_sub_u32_e32 v2, v4, v2
	v_mad_u64_u32 v[2:3], s[4:5], v3, s0, v[2:3]
	v_addc_co_u32_e32 v1, vcc, v9, v1, vcc
	v_pack_b32_f16 v3, v24, v54
	global_store_dword v[0:1], v3, off
	;; [unrolled: 24-line block ×8, first 2 shown]
	v_mov_b32_e32 v3, v13
	v_lshlrev_b64 v[0:1], 2, v[2:3]
	v_pack_b32_f16 v3, v35, v34
	v_add_co_u32_e32 v0, vcc, v8, v0
	v_addc_co_u32_e32 v1, vcc, v9, v1, vcc
	v_add_u32_e32 v12, 50, v2
	global_store_dword v[0:1], v3, off
	v_lshlrev_b64 v[0:1], 2, v[12:13]
	v_pack_b32_f16 v3, v33, v22
	v_add_co_u32_e32 v0, vcc, v8, v0
	v_addc_co_u32_e32 v1, vcc, v9, v1, vcc
	v_add_u32_e32 v12, 0x64, v2
	global_store_dword v[0:1], v3, off
	v_lshlrev_b64 v[0:1], 2, v[12:13]
	v_pack_b32_f16 v2, v11, v10
	v_add_co_u32_e32 v0, vcc, v8, v0
	v_addc_co_u32_e32 v1, vcc, v9, v1, vcc
	global_store_dword v[0:1], v2, off
.LBB0_14:
	s_endpgm
	.section	.rodata,"a",@progbits
	.p2align	6, 0x0
	.amdhsa_kernel fft_rtc_fwd_len150_factors_10_5_3_wgs_60_tpt_5_halfLds_half_op_CI_CI_unitstride_sbrr_dirReg
		.amdhsa_group_segment_fixed_size 0
		.amdhsa_private_segment_fixed_size 0
		.amdhsa_kernarg_size 104
		.amdhsa_user_sgpr_count 6
		.amdhsa_user_sgpr_private_segment_buffer 1
		.amdhsa_user_sgpr_dispatch_ptr 0
		.amdhsa_user_sgpr_queue_ptr 0
		.amdhsa_user_sgpr_kernarg_segment_ptr 1
		.amdhsa_user_sgpr_dispatch_id 0
		.amdhsa_user_sgpr_flat_scratch_init 0
		.amdhsa_user_sgpr_private_segment_size 0
		.amdhsa_uses_dynamic_stack 0
		.amdhsa_system_sgpr_private_segment_wavefront_offset 0
		.amdhsa_system_sgpr_workgroup_id_x 1
		.amdhsa_system_sgpr_workgroup_id_y 0
		.amdhsa_system_sgpr_workgroup_id_z 0
		.amdhsa_system_sgpr_workgroup_info 0
		.amdhsa_system_vgpr_workitem_id 0
		.amdhsa_next_free_vgpr 98
		.amdhsa_next_free_sgpr 28
		.amdhsa_reserve_vcc 1
		.amdhsa_reserve_flat_scratch 0
		.amdhsa_float_round_mode_32 0
		.amdhsa_float_round_mode_16_64 0
		.amdhsa_float_denorm_mode_32 3
		.amdhsa_float_denorm_mode_16_64 3
		.amdhsa_dx10_clamp 1
		.amdhsa_ieee_mode 1
		.amdhsa_fp16_overflow 0
		.amdhsa_exception_fp_ieee_invalid_op 0
		.amdhsa_exception_fp_denorm_src 0
		.amdhsa_exception_fp_ieee_div_zero 0
		.amdhsa_exception_fp_ieee_overflow 0
		.amdhsa_exception_fp_ieee_underflow 0
		.amdhsa_exception_fp_ieee_inexact 0
		.amdhsa_exception_int_div_zero 0
	.end_amdhsa_kernel
	.text
.Lfunc_end0:
	.size	fft_rtc_fwd_len150_factors_10_5_3_wgs_60_tpt_5_halfLds_half_op_CI_CI_unitstride_sbrr_dirReg, .Lfunc_end0-fft_rtc_fwd_len150_factors_10_5_3_wgs_60_tpt_5_halfLds_half_op_CI_CI_unitstride_sbrr_dirReg
                                        ; -- End function
	.section	.AMDGPU.csdata,"",@progbits
; Kernel info:
; codeLenInByte = 12784
; NumSgprs: 32
; NumVgprs: 98
; ScratchSize: 0
; MemoryBound: 0
; FloatMode: 240
; IeeeMode: 1
; LDSByteSize: 0 bytes/workgroup (compile time only)
; SGPRBlocks: 3
; VGPRBlocks: 24
; NumSGPRsForWavesPerEU: 32
; NumVGPRsForWavesPerEU: 98
; Occupancy: 2
; WaveLimiterHint : 1
; COMPUTE_PGM_RSRC2:SCRATCH_EN: 0
; COMPUTE_PGM_RSRC2:USER_SGPR: 6
; COMPUTE_PGM_RSRC2:TRAP_HANDLER: 0
; COMPUTE_PGM_RSRC2:TGID_X_EN: 1
; COMPUTE_PGM_RSRC2:TGID_Y_EN: 0
; COMPUTE_PGM_RSRC2:TGID_Z_EN: 0
; COMPUTE_PGM_RSRC2:TIDIG_COMP_CNT: 0
	.type	__hip_cuid_45b52f92b940ef4c,@object ; @__hip_cuid_45b52f92b940ef4c
	.section	.bss,"aw",@nobits
	.globl	__hip_cuid_45b52f92b940ef4c
__hip_cuid_45b52f92b940ef4c:
	.byte	0                               ; 0x0
	.size	__hip_cuid_45b52f92b940ef4c, 1

	.ident	"AMD clang version 19.0.0git (https://github.com/RadeonOpenCompute/llvm-project roc-6.4.0 25133 c7fe45cf4b819c5991fe208aaa96edf142730f1d)"
	.section	".note.GNU-stack","",@progbits
	.addrsig
	.addrsig_sym __hip_cuid_45b52f92b940ef4c
	.amdgpu_metadata
---
amdhsa.kernels:
  - .args:
      - .actual_access:  read_only
        .address_space:  global
        .offset:         0
        .size:           8
        .value_kind:     global_buffer
      - .offset:         8
        .size:           8
        .value_kind:     by_value
      - .actual_access:  read_only
        .address_space:  global
        .offset:         16
        .size:           8
        .value_kind:     global_buffer
      - .actual_access:  read_only
        .address_space:  global
        .offset:         24
        .size:           8
        .value_kind:     global_buffer
      - .actual_access:  read_only
        .address_space:  global
        .offset:         32
        .size:           8
        .value_kind:     global_buffer
      - .offset:         40
        .size:           8
        .value_kind:     by_value
      - .actual_access:  read_only
        .address_space:  global
        .offset:         48
        .size:           8
        .value_kind:     global_buffer
      - .actual_access:  read_only
        .address_space:  global
        .offset:         56
        .size:           8
        .value_kind:     global_buffer
      - .offset:         64
        .size:           4
        .value_kind:     by_value
      - .actual_access:  read_only
        .address_space:  global
        .offset:         72
        .size:           8
        .value_kind:     global_buffer
      - .actual_access:  read_only
        .address_space:  global
        .offset:         80
        .size:           8
        .value_kind:     global_buffer
      - .actual_access:  read_only
        .address_space:  global
        .offset:         88
        .size:           8
        .value_kind:     global_buffer
      - .actual_access:  write_only
        .address_space:  global
        .offset:         96
        .size:           8
        .value_kind:     global_buffer
    .group_segment_fixed_size: 0
    .kernarg_segment_align: 8
    .kernarg_segment_size: 104
    .language:       OpenCL C
    .language_version:
      - 2
      - 0
    .max_flat_workgroup_size: 60
    .name:           fft_rtc_fwd_len150_factors_10_5_3_wgs_60_tpt_5_halfLds_half_op_CI_CI_unitstride_sbrr_dirReg
    .private_segment_fixed_size: 0
    .sgpr_count:     32
    .sgpr_spill_count: 0
    .symbol:         fft_rtc_fwd_len150_factors_10_5_3_wgs_60_tpt_5_halfLds_half_op_CI_CI_unitstride_sbrr_dirReg.kd
    .uniform_work_group_size: 1
    .uses_dynamic_stack: false
    .vgpr_count:     98
    .vgpr_spill_count: 0
    .wavefront_size: 64
amdhsa.target:   amdgcn-amd-amdhsa--gfx906
amdhsa.version:
  - 1
  - 2
...

	.end_amdgpu_metadata
